;; amdgpu-corpus repo=ROCm/rocFFT kind=compiled arch=gfx1030 opt=O3
	.text
	.amdgcn_target "amdgcn-amd-amdhsa--gfx1030"
	.amdhsa_code_object_version 6
	.protected	bluestein_single_back_len238_dim1_half_op_CI_CI ; -- Begin function bluestein_single_back_len238_dim1_half_op_CI_CI
	.globl	bluestein_single_back_len238_dim1_half_op_CI_CI
	.p2align	8
	.type	bluestein_single_back_len238_dim1_half_op_CI_CI,@function
bluestein_single_back_len238_dim1_half_op_CI_CI: ; @bluestein_single_back_len238_dim1_half_op_CI_CI
; %bb.0:
	s_load_dwordx4 s[0:3], s[4:5], 0x28
	v_mul_u32_u24_e32 v1, 0xf10, v0
	v_lshrrev_b32_e32 v1, 16, v1
	v_mad_u64_u32 v[4:5], null, s6, 3, v[1:2]
	v_mov_b32_e32 v5, 0
	s_waitcnt lgkmcnt(0)
	v_cmp_gt_u64_e32 vcc_lo, s[0:1], v[4:5]
	s_and_saveexec_b32 s0, vcc_lo
	s_cbranch_execz .LBB0_15
; %bb.1:
	v_mul_hi_u32 v2, 0xaaaaaaab, v4
	v_mul_lo_u16 v1, v1, 17
	s_clause 0x1
	s_load_dwordx2 s[12:13], s[4:5], 0x0
	s_load_dwordx2 s[14:15], s[4:5], 0x38
	v_sub_nc_u16 v0, v0, v1
	v_lshrrev_b32_e32 v2, 1, v2
	v_and_b32_e32 v27, 0xffff, v0
	v_cmp_gt_u16_e32 vcc_lo, 14, v0
	v_lshl_add_u32 v2, v2, 1, v2
	v_lshlrev_b32_e32 v24, 2, v27
	v_or_b32_e32 v25, 0x70, v27
	v_sub_nc_u32_e32 v1, v4, v2
	v_or_b32_e32 v23, 0xe0, v27
	v_mul_u32_u24_e32 v26, 0xee, v1
	v_lshlrev_b32_e32 v28, 2, v26
	s_and_saveexec_b32 s1, vcc_lo
	s_cbranch_execz .LBB0_3
; %bb.2:
	s_load_dwordx2 s[6:7], s[4:5], 0x18
	v_lshl_add_u32 v41, v27, 2, v28
	v_add_nc_u32_e32 v42, v28, v24
	s_waitcnt lgkmcnt(0)
	s_load_dwordx4 s[8:11], s[6:7], 0x0
	s_clause 0x4
	global_load_dword v14, v24, s[12:13]
	global_load_dword v15, v24, s[12:13] offset:56
	global_load_dword v16, v24, s[12:13] offset:448
	global_load_dword v17, v24, s[12:13] offset:896
	global_load_dword v19, v24, s[12:13] offset:112
	s_waitcnt lgkmcnt(0)
	v_mad_u64_u32 v[0:1], null, s10, v4, 0
	v_mad_u64_u32 v[2:3], null, s8, v27, 0
	;; [unrolled: 1-line block ×4, first 2 shown]
	s_mul_i32 s0, s9, 56
	s_mul_hi_u32 s6, s8, 56
	v_mad_u64_u32 v[9:10], null, s11, v4, v[1:2]
	v_mad_u64_u32 v[10:11], null, s9, v27, v[3:4]
	;; [unrolled: 1-line block ×3, first 2 shown]
	s_add_i32 s6, s6, s0
	s_mul_i32 s7, s8, 56
	v_mov_b32_e32 v1, v9
	v_mad_u64_u32 v[12:13], null, s9, v23, v[8:9]
	v_mov_b32_e32 v3, v10
	v_mov_b32_e32 v6, v11
	v_lshlrev_b64 v[0:1], 2, v[0:1]
	v_lshlrev_b64 v[2:3], 2, v[2:3]
	v_mov_b32_e32 v8, v12
	v_lshlrev_b64 v[5:6], 2, v[5:6]
	v_add_co_u32 v9, s0, s2, v0
	v_add_co_ci_u32_e64 v10, s0, s3, v1, s0
	v_lshlrev_b64 v[0:1], 2, v[7:8]
	v_add_co_u32 v2, s0, v9, v2
	v_add_co_ci_u32_e64 v3, s0, v10, v3, s0
	v_add_co_u32 v5, s0, v9, v5
	v_add_co_ci_u32_e64 v6, s0, v10, v6, s0
	;; [unrolled: 2-line block ×4, first 2 shown]
	s_clause 0x2
	global_load_dword v11, v[2:3], off
	global_load_dword v12, v[5:6], off
	;; [unrolled: 1-line block ×3, first 2 shown]
	v_add_co_u32 v2, s0, v7, s7
	v_add_co_ci_u32_e64 v3, s0, s6, v8, s0
	global_load_dword v18, v[7:8], off
	v_add_co_u32 v5, s0, v2, s7
	global_load_dword v20, v[2:3], off
	v_add_co_ci_u32_e64 v6, s0, s6, v3, s0
	v_add_co_u32 v0, s0, v5, s7
	global_load_dword v21, v24, s[12:13] offset:168
	global_load_dword v22, v[5:6], off
	v_add_co_ci_u32_e64 v1, s0, s6, v6, s0
	v_add_co_u32 v7, s0, v0, s7
	global_load_dword v29, v[0:1], off
	global_load_dword v30, v24, s[12:13] offset:224
	v_add_co_ci_u32_e64 v8, s0, s6, v1, s0
	v_add_co_u32 v9, s0, v7, s7
	v_add_co_ci_u32_e64 v10, s0, s6, v8, s0
	v_add_co_u32 v2, s0, v9, s7
	global_load_dword v7, v[7:8], off
	v_add_co_ci_u32_e64 v3, s0, s6, v10, s0
	global_load_dword v8, v24, s[12:13] offset:280
	global_load_dword v9, v[9:10], off
	global_load_dword v10, v24, s[12:13] offset:336
	v_mad_u64_u32 v[5:6], null, 0x70, s8, v[2:3]
	v_mov_b32_e32 v0, v6
	v_mad_u64_u32 v[0:1], null, 0x70, s9, v[0:1]
	v_mov_b32_e32 v6, v0
	v_add_co_u32 v0, s0, v5, s7
	global_load_dword v31, v24, s[12:13] offset:392
	global_load_dword v32, v[2:3], off
	global_load_dword v33, v[5:6], off
	v_add_co_ci_u32_e64 v1, s0, s6, v6, s0
	v_add_co_u32 v2, s0, v0, s7
	s_clause 0x3
	global_load_dword v5, v24, s[12:13] offset:504
	global_load_dword v6, v24, s[12:13] offset:560
	;; [unrolled: 1-line block ×4, first 2 shown]
	v_add_co_ci_u32_e64 v3, s0, s6, v1, s0
	global_load_dword v36, v[0:1], off
	v_add_co_u32 v0, s0, v2, s7
	v_add_co_ci_u32_e64 v1, s0, s6, v3, s0
	global_load_dword v37, v[2:3], off
	v_add_co_u32 v2, s0, v0, s7
	;; [unrolled: 3-line block ×4, first 2 shown]
	v_add_co_ci_u32_e64 v3, s0, s6, v1, s0
	global_load_dword v40, v24, s[12:13] offset:728
	global_load_dword v0, v[0:1], off
	global_load_dword v1, v[2:3], off
	s_clause 0x1
	global_load_dword v2, v24, s[12:13] offset:784
	global_load_dword v3, v24, s[12:13] offset:840
	s_waitcnt vmcnt(28)
	v_lshrrev_b32_e32 v43, 16, v11
	v_mul_f16_sdwa v44, v14, v11 dst_sel:DWORD dst_unused:UNUSED_PAD src0_sel:WORD_1 src1_sel:DWORD
	s_waitcnt vmcnt(27)
	v_lshrrev_b32_e32 v45, 16, v12
	v_mul_f16_sdwa v46, v16, v12 dst_sel:DWORD dst_unused:UNUSED_PAD src0_sel:WORD_1 src1_sel:DWORD
	;; [unrolled: 3-line block ×3, first 2 shown]
	v_fma_f16 v43, v14, v43, -v44
	s_waitcnt vmcnt(25)
	v_lshrrev_b32_e32 v44, 16, v18
	v_mul_f16_sdwa v50, v15, v18 dst_sel:DWORD dst_unused:UNUSED_PAD src0_sel:WORD_1 src1_sel:DWORD
	v_mul_f16_sdwa v48, v17, v13 dst_sel:DWORD dst_unused:UNUSED_PAD src0_sel:WORD_1 src1_sel:DWORD
	;; [unrolled: 1-line block ×3, first 2 shown]
	v_fma_f16 v45, v16, v45, -v46
	v_mul_f16_sdwa v46, v17, v47 dst_sel:DWORD dst_unused:UNUSED_PAD src0_sel:WORD_1 src1_sel:DWORD
	v_fmac_f16_e32 v49, v14, v11
	v_mul_f16_sdwa v11, v15, v44 dst_sel:DWORD dst_unused:UNUSED_PAD src0_sel:WORD_1 src1_sel:DWORD
	v_fma_f16 v14, v15, v44, -v50
	s_waitcnt vmcnt(24)
	v_lshrrev_b32_e32 v44, 16, v20
	v_fma_f16 v47, v17, v47, -v48
	v_mul_f16_sdwa v48, v19, v20 dst_sel:DWORD dst_unused:UNUSED_PAD src0_sel:WORD_1 src1_sel:DWORD
	v_fmac_f16_e32 v46, v17, v13
	v_fmac_f16_e32 v51, v16, v12
	v_mul_f16_sdwa v13, v19, v44 dst_sel:DWORD dst_unused:UNUSED_PAD src0_sel:WORD_1 src1_sel:DWORD
	v_pack_b32_f16 v12, v49, v43
	v_fmac_f16_e32 v11, v15, v18
	v_fma_f16 v15, v19, v44, -v48
	s_waitcnt vmcnt(22)
	v_lshrrev_b32_e32 v16, 16, v22
	v_fmac_f16_e32 v13, v19, v20
	v_mul_f16_sdwa v17, v21, v22 dst_sel:DWORD dst_unused:UNUSED_PAD src0_sel:WORD_1 src1_sel:DWORD
	ds_write_b32 v41, v12
	v_pack_b32_f16 v11, v11, v14
	v_mul_f16_sdwa v12, v21, v16 dst_sel:DWORD dst_unused:UNUSED_PAD src0_sel:WORD_1 src1_sel:DWORD
	s_waitcnt vmcnt(21)
	v_lshrrev_b32_e32 v14, 16, v29
	v_pack_b32_f16 v13, v13, v15
	s_waitcnt vmcnt(20)
	v_mul_f16_sdwa v19, v30, v29 dst_sel:DWORD dst_unused:UNUSED_PAD src0_sel:WORD_1 src1_sel:DWORD
	v_fma_f16 v16, v21, v16, -v17
	v_fmac_f16_e32 v12, v21, v22
	v_mul_f16_sdwa v15, v30, v14 dst_sel:DWORD dst_unused:UNUSED_PAD src0_sel:WORD_1 src1_sel:DWORD
	s_waitcnt vmcnt(19)
	v_lshrrev_b32_e32 v17, 16, v7
	ds_write2_b32 v42, v11, v13 offset0:14 offset1:28
	s_waitcnt vmcnt(17)
	v_lshrrev_b32_e32 v11, 16, v9
	v_fma_f16 v14, v30, v14, -v19
	v_mul_f16_sdwa v19, v8, v7 dst_sel:DWORD dst_unused:UNUSED_PAD src0_sel:WORD_1 src1_sel:DWORD
	v_pack_b32_f16 v12, v12, v16
	v_mul_f16_sdwa v13, v8, v17 dst_sel:DWORD dst_unused:UNUSED_PAD src0_sel:WORD_1 src1_sel:DWORD
	s_waitcnt vmcnt(16)
	v_mul_f16_sdwa v16, v10, v9 dst_sel:DWORD dst_unused:UNUSED_PAD src0_sel:WORD_1 src1_sel:DWORD
	v_fmac_f16_e32 v15, v30, v29
	v_mul_f16_sdwa v20, v10, v11 dst_sel:DWORD dst_unused:UNUSED_PAD src0_sel:WORD_1 src1_sel:DWORD
	v_fma_f16 v17, v8, v17, -v19
	v_fmac_f16_e32 v13, v8, v7
	v_fma_f16 v7, v10, v11, -v16
	v_pack_b32_f16 v18, v51, v45
	v_fmac_f16_e32 v20, v10, v9
	v_pack_b32_f16 v9, v15, v14
	v_pack_b32_f16 v11, v13, v17
	;; [unrolled: 1-line block ×3, first 2 shown]
	ds_write2_b32 v42, v12, v9 offset0:42 offset1:56
	s_waitcnt vmcnt(14)
	v_lshrrev_b32_e32 v8, 16, v32
	v_mul_f16_sdwa v10, v31, v32 dst_sel:DWORD dst_unused:UNUSED_PAD src0_sel:WORD_1 src1_sel:DWORD
	s_waitcnt vmcnt(13)
	v_lshrrev_b32_e32 v9, 16, v33
	ds_write2_b32 v42, v11, v7 offset0:70 offset1:84
	s_waitcnt vmcnt(12)
	v_mul_f16_sdwa v7, v5, v33 dst_sel:DWORD dst_unused:UNUSED_PAD src0_sel:WORD_1 src1_sel:DWORD
	v_mul_f16_sdwa v13, v31, v8 dst_sel:DWORD dst_unused:UNUSED_PAD src0_sel:WORD_1 src1_sel:DWORD
	v_fma_f16 v8, v31, v8, -v10
	v_mul_f16_sdwa v10, v5, v9 dst_sel:DWORD dst_unused:UNUSED_PAD src0_sel:WORD_1 src1_sel:DWORD
	v_fma_f16 v7, v5, v9, -v7
	s_waitcnt vmcnt(8)
	v_lshrrev_b32_e32 v11, 16, v36
	v_mul_f16_sdwa v12, v6, v36 dst_sel:DWORD dst_unused:UNUSED_PAD src0_sel:WORD_1 src1_sel:DWORD
	v_fmac_f16_e32 v10, v5, v33
	v_fmac_f16_e32 v13, v31, v32
	v_mul_f16_sdwa v5, v6, v11 dst_sel:DWORD dst_unused:UNUSED_PAD src0_sel:WORD_1 src1_sel:DWORD
	v_fma_f16 v9, v6, v11, -v12
	s_waitcnt vmcnt(7)
	v_lshrrev_b32_e32 v11, 16, v37
	v_mul_f16_sdwa v12, v34, v37 dst_sel:DWORD dst_unused:UNUSED_PAD src0_sel:WORD_1 src1_sel:DWORD
	v_pack_b32_f16 v7, v10, v7
	v_fmac_f16_e32 v5, v6, v36
	s_waitcnt vmcnt(6)
	v_lshrrev_b32_e32 v6, 16, v38
	v_mul_f16_sdwa v10, v34, v11 dst_sel:DWORD dst_unused:UNUSED_PAD src0_sel:WORD_1 src1_sel:DWORD
	v_fma_f16 v11, v34, v11, -v12
	v_mul_f16_sdwa v12, v35, v38 dst_sel:DWORD dst_unused:UNUSED_PAD src0_sel:WORD_1 src1_sel:DWORD
	v_pack_b32_f16 v8, v13, v8
	v_pack_b32_f16 v5, v5, v9
	v_mul_f16_sdwa v9, v35, v6 dst_sel:DWORD dst_unused:UNUSED_PAD src0_sel:WORD_1 src1_sel:DWORD
	s_waitcnt vmcnt(5)
	v_lshrrev_b32_e32 v13, 16, v39
	v_fma_f16 v6, v35, v6, -v12
	s_waitcnt vmcnt(4)
	v_mul_f16_sdwa v12, v40, v39 dst_sel:DWORD dst_unused:UNUSED_PAD src0_sel:WORD_1 src1_sel:DWORD
	s_waitcnt vmcnt(3)
	v_lshrrev_b32_e32 v14, 16, v0
	s_waitcnt vmcnt(2)
	v_lshrrev_b32_e32 v16, 16, v1
	v_mul_f16_sdwa v15, v40, v13 dst_sel:DWORD dst_unused:UNUSED_PAD src0_sel:WORD_1 src1_sel:DWORD
	s_waitcnt vmcnt(0)
	v_mul_f16_sdwa v19, v3, v1 dst_sel:DWORD dst_unused:UNUSED_PAD src0_sel:WORD_1 src1_sel:DWORD
	v_fma_f16 v12, v40, v13, -v12
	v_mul_f16_sdwa v13, v2, v0 dst_sel:DWORD dst_unused:UNUSED_PAD src0_sel:WORD_1 src1_sel:DWORD
	v_mul_f16_sdwa v17, v2, v14 dst_sel:DWORD dst_unused:UNUSED_PAD src0_sel:WORD_1 src1_sel:DWORD
	;; [unrolled: 1-line block ×3, first 2 shown]
	v_fmac_f16_e32 v10, v34, v37
	v_fmac_f16_e32 v9, v35, v38
	;; [unrolled: 1-line block ×3, first 2 shown]
	v_fma_f16 v13, v2, v14, -v13
	v_fmac_f16_e32 v17, v2, v0
	v_fma_f16 v0, v3, v16, -v19
	v_fmac_f16_e32 v20, v3, v1
	v_pack_b32_f16 v1, v10, v11
	v_pack_b32_f16 v2, v9, v6
	;; [unrolled: 1-line block ×6, first 2 shown]
	ds_write2_b32 v42, v8, v18 offset0:98 offset1:112
	ds_write2_b32 v42, v7, v5 offset0:126 offset1:140
	;; [unrolled: 1-line block ×5, first 2 shown]
.LBB0_3:
	s_or_b32 exec_lo, exec_lo, s1
	s_clause 0x1
	s_load_dwordx2 s[2:3], s[4:5], 0x20
	s_load_dwordx2 s[0:1], s[4:5], 0x8
	v_mov_b32_e32 v9, 0
	s_waitcnt lgkmcnt(0)
	s_barrier
	buffer_gl0_inv
                                        ; implicit-def: $vgpr19
                                        ; implicit-def: $vgpr1
                                        ; implicit-def: $vgpr3
                                        ; implicit-def: $vgpr8
                                        ; implicit-def: $vgpr12
                                        ; implicit-def: $vgpr14
                                        ; implicit-def: $vgpr16
                                        ; implicit-def: $vgpr18
                                        ; implicit-def: $vgpr50
	s_and_saveexec_b32 s4, vcc_lo
	s_cbranch_execz .LBB0_5
; %bb.4:
	v_lshl_add_u32 v5, v26, 2, v24
	ds_read2_b32 v[9:10], v5 offset1:14
	ds_read2_b32 v[17:18], v5 offset0:28 offset1:42
	ds_read2_b32 v[15:16], v5 offset0:56 offset1:70
	;; [unrolled: 1-line block ×7, first 2 shown]
	ds_read_b32 v19, v5 offset:896
	s_waitcnt lgkmcnt(7)
	v_alignbit_b32 v50, v17, v17, 16
.LBB0_5:
	s_or_b32 exec_lo, exec_lo, s4
	s_waitcnt lgkmcnt(0)
	v_pk_add_f16 v17, v10, v19 neg_lo:[0,1] neg_hi:[0,1]
	v_mov_b32_e32 v104, 0xb5c8
	v_pk_add_f16 v21, v19, v10
	v_pk_add_f16 v20, v1, v50 op_sel:[1,0] op_sel_hi:[0,1]
	v_pk_add_f16 v22, v50, v1 op_sel:[1,0] op_sel_hi:[0,1] neg_lo:[0,1] neg_hi:[0,1]
	v_mov_b32_e32 v109, 0xb964
	v_mul_f16_sdwa v40, v17, v104 dst_sel:DWORD dst_unused:UNUSED_PAD src0_sel:WORD_1 src1_sel:DWORD
	v_lshrrev_b32_e32 v67, 16, v21
	v_mul_f16_e32 v49, 0xb964, v17
	v_lshrrev_b32_e32 v66, 16, v20
	v_mul_f16_sdwa v41, v22, v109 dst_sel:DWORD dst_unused:UNUSED_PAD src0_sel:WORD_1 src1_sel:DWORD
	v_fmamk_f16 v5, v21, 0x3b76, v40
	v_mov_b32_e32 v105, 0xbb29
	v_fma_f16 v6, v67, 0x39e9, -v49
	v_mul_f16_e32 v52, 0xbbf7, v22
	v_fmamk_f16 v31, v66, 0x39e9, v41
	v_add_f16_e32 v5, v5, v9
	v_pk_add_f16 v34, v18, v0 neg_lo:[0,1] neg_hi:[0,1]
	v_pk_add_f16 v35, v0, v18
	v_mul_f16_sdwa v55, v17, v105 dst_sel:DWORD dst_unused:UNUSED_PAD src0_sel:WORD_1 src1_sel:DWORD
	v_mul_f16_e32 v63, 0xbb29, v17
	v_add_f16_sdwa v6, v6, v9 dst_sel:DWORD dst_unused:UNUSED_PAD src0_sel:DWORD src1_sel:WORD_1
	v_mov_b32_e32 v107, 0xba62
	v_add_f16_e32 v5, v31, v5
	v_fma_f16 v31, v20, 0x2de8, -v52
	v_lshrrev_b32_e32 v70, 16, v35
	v_mul_f16_e32 v47, 0xba62, v34
	v_fmamk_f16 v29, v21, 0x3722, v55
	v_fma_f16 v30, v67, 0x3722, -v63
	v_mul_f16_sdwa v60, v22, v107 dst_sel:DWORD dst_unused:UNUSED_PAD src0_sel:WORD_1 src1_sel:DWORD
	v_mul_f16_e32 v69, 0xba62, v22
	v_add_f16_e32 v6, v31, v6
	v_fma_f16 v36, v70, 0xb8d2, -v47
	v_mov_b32_e32 v37, 0x31e1
	v_add_f16_e32 v29, v29, v9
	v_add_f16_sdwa v30, v30, v9 dst_sel:DWORD dst_unused:UNUSED_PAD src0_sel:DWORD src1_sel:WORD_1
	v_mul_f16_sdwa v45, v34, v105 dst_sel:DWORD dst_unused:UNUSED_PAD src0_sel:WORD_1 src1_sel:DWORD
	v_fmamk_f16 v31, v66, 0xb8d2, v60
	v_fma_f16 v32, v20, 0xb8d2, -v69
	v_add_f16_e32 v6, v36, v6
	v_mul_f16_sdwa v61, v34, v37 dst_sel:DWORD dst_unused:UNUSED_PAD src0_sel:WORD_1 src1_sel:DWORD
	v_mul_f16_e32 v73, 0x31e1, v34
	v_pk_add_f16 v36, v15, v3 neg_lo:[0,1] neg_hi:[0,1]
	v_mov_b32_e32 v110, 0xbbf7
	v_pk_add_f16 v37, v3, v15
	v_fmamk_f16 v33, v35, 0x3722, v45
	v_add_f16_e32 v29, v31, v29
	v_add_f16_e32 v30, v32, v30
	v_fmamk_f16 v31, v35, 0xbbdd, v61
	v_mov_b32_e32 v126, 0x3bb2
	v_fma_f16 v32, v70, 0xbbdd, -v73
	v_mul_f16_sdwa v48, v36, v110 dst_sel:DWORD dst_unused:UNUSED_PAD src0_sel:WORD_1 src1_sel:DWORD
	v_lshrrev_b32_e32 v76, 16, v37
	v_mul_f16_e32 v54, 0xb1e1, v36
	v_pk_add_f16 v38, v16, v2 neg_lo:[0,1] neg_hi:[0,1]
	v_mov_b32_e32 v108, 0xbbb2
	v_add_f16_e32 v5, v33, v5
	v_mul_f16_sdwa v57, v36, v126 dst_sel:DWORD dst_unused:UNUSED_PAD src0_sel:WORD_1 src1_sel:DWORD
	v_add_f16_e32 v29, v31, v29
	v_add_f16_e32 v30, v32, v30
	v_fmamk_f16 v31, v37, 0x2de8, v48
	v_fma_f16 v32, v76, 0xbbdd, -v54
	v_mul_f16_e32 v79, 0x3bb2, v36
	v_pk_add_f16 v39, v2, v16
	v_mul_f16_sdwa v51, v38, v108 dst_sel:DWORD dst_unused:UNUSED_PAD src0_sel:WORD_1 src1_sel:DWORD
	v_mov_b32_e32 v111, 0x3964
	v_fmamk_f16 v33, v37, 0xb461, v57
	v_add_f16_e32 v5, v31, v5
	v_add_f16_e32 v6, v32, v6
	v_fma_f16 v31, v76, 0xb461, -v79
	v_fmamk_f16 v32, v39, 0xb461, v51
	v_lshrrev_b32_e32 v82, 16, v39
	v_mul_f16_e32 v62, 0x3836, v38
	v_mul_f16_sdwa v64, v38, v111 dst_sel:DWORD dst_unused:UNUSED_PAD src0_sel:WORD_1 src1_sel:DWORD
	v_mul_f16_e32 v84, 0x3964, v38
	v_pk_add_f16 v42, v13, v8 neg_lo:[0,1] neg_hi:[0,1]
	v_add_f16_e32 v29, v33, v29
	v_add_f16_e32 v30, v31, v30
	;; [unrolled: 1-line block ×3, first 2 shown]
	v_fma_f16 v31, v82, 0xbacd, -v62
	v_fmamk_f16 v32, v39, 0x39e9, v64
	v_fma_f16 v33, v82, 0x39e9, -v84
	v_pk_add_f16 v43, v8, v13
	v_mul_f16_sdwa v58, v42, v107 dst_sel:DWORD dst_unused:UNUSED_PAD src0_sel:WORD_1 src1_sel:DWORD
	v_mul_f16_sdwa v68, v42, v104 dst_sel:DWORD dst_unused:UNUSED_PAD src0_sel:WORD_1 src1_sel:DWORD
	v_add_f16_e32 v6, v31, v6
	v_add_f16_e32 v29, v32, v29
	;; [unrolled: 1-line block ×3, first 2 shown]
	v_lshrrev_b32_e32 v88, 16, v43
	v_mul_f16_e32 v65, 0x3bb2, v42
	v_fmamk_f16 v31, v43, 0xb8d2, v58
	v_pk_add_f16 v44, v14, v7 neg_lo:[0,1] neg_hi:[0,1]
	v_mov_b32_e32 v127, 0xb836
	v_fmamk_f16 v33, v43, 0x3b76, v68
	v_mul_f16_e32 v95, 0xb5c8, v42
	v_fma_f16 v32, v88, 0xb461, -v65
	v_pk_add_f16 v46, v7, v14
	v_mul_f16_sdwa v59, v44, v127 dst_sel:DWORD dst_unused:UNUSED_PAD src0_sel:WORD_1 src1_sel:DWORD
	v_add_f16_e32 v5, v31, v5
	v_add_f16_e32 v29, v33, v29
	v_fma_f16 v31, v88, 0x3b76, -v95
	v_pk_mul_f16 v33, 0x3b7639e9, v21
	v_add_f16_e32 v6, v32, v6
	v_fmamk_f16 v32, v46, 0xbacd, v59
	v_lshrrev_b32_e32 v98, 16, v46
	v_mul_f16_e32 v74, 0x3b29, v44
	v_add_f16_e32 v30, v31, v30
	v_pk_mul_f16 v31, 0xbbf7b964, v22
	v_pk_fma_f16 v71, 0xb964b5c8, v17, v33 op_sel:[0,0,1] op_sel_hi:[1,1,0]
	v_add_f16_e32 v5, v32, v5
	v_fma_f16 v32, v98, 0x3722, -v74
	v_mul_f16_sdwa v78, v44, v110 dst_sel:DWORD dst_unused:UNUSED_PAD src0_sel:WORD_1 src1_sel:DWORD
	v_mul_f16_e32 v81, 0xbbf7, v44
	v_pk_fma_f16 v72, 0x2de839e9, v20, v31
	v_add_f16_sdwa v53, v71, v9 dst_sel:DWORD dst_unused:UNUSED_PAD src0_sel:WORD_1 src1_sel:DWORD
	v_pk_mul_f16 v86, 0x3722b8d2, v35
	v_add_f16_e32 v32, v32, v6
	v_fmamk_f16 v6, v46, 0x2de8, v78
	v_fma_f16 v56, v98, 0x2de8, -v81
	v_add_f16_sdwa v77, v72, v53 dst_sel:DWORD dst_unused:UNUSED_PAD src0_sel:WORD_1 src1_sel:DWORD
	v_pk_fma_f16 v75, 0xba62bb29, v34, v86 op_sel:[0,0,1] op_sel_hi:[1,1,0]
	v_pk_mul_f16 v91, 0x2de8bbdd, v37
	v_pk_fma_f16 v85, 0xb964b5c8, v17, v33 op_sel:[0,0,1] op_sel_hi:[1,1,0] neg_lo:[0,1,0] neg_hi:[0,1,0]
	v_add_f16_e32 v6, v6, v29
	v_add_f16_e32 v29, v56, v30
	v_pk_add_f16 v53, v11, v12 neg_lo:[0,1] neg_hi:[0,1]
	v_add_f16_sdwa v30, v75, v77 dst_sel:DWORD dst_unused:UNUSED_PAD src0_sel:WORD_1 src1_sel:DWORD
	v_pk_fma_f16 v77, 0xb1e1bbf7, v36, v91 op_sel:[0,0,1] op_sel_hi:[1,1,0]
	v_pk_mul_f16 v92, 0xb461bacd, v39
	v_mov_b32_e32 v128, 0xb1e1
	v_pk_fma_f16 v89, 0x2de839e9, v20, v31 neg_lo:[0,0,1] neg_hi:[0,0,1]
	v_add_f16_sdwa v31, v85, v9 dst_sel:DWORD dst_unused:UNUSED_PAD src0_sel:DWORD src1_sel:WORD_1
	v_pk_add_f16 v56, v12, v11
	v_add_f16_sdwa v30, v77, v30 dst_sel:DWORD dst_unused:UNUSED_PAD src0_sel:WORD_1 src1_sel:DWORD
	v_pk_fma_f16 v83, 0x3836bbb2, v38, v92 op_sel:[0,0,1] op_sel_hi:[1,1,0]
	v_pk_mul_f16 v33, 0xb8d2b461, v43
	v_mul_f16_sdwa v80, v53, v128 dst_sel:DWORD dst_unused:UNUSED_PAD src0_sel:WORD_1 src1_sel:DWORD
	v_pk_fma_f16 v90, 0xba62bb29, v34, v86 op_sel:[0,0,1] op_sel_hi:[1,1,0] neg_lo:[0,1,0] neg_hi:[0,1,0]
	v_add_f16_e32 v31, v89, v31
	v_add_f16_sdwa v30, v83, v30 dst_sel:DWORD dst_unused:UNUSED_PAD src0_sel:WORD_1 src1_sel:DWORD
	v_pk_fma_f16 v87, 0x3bb2ba62, v42, v33 op_sel:[0,0,1] op_sel_hi:[1,1,0]
	v_fmamk_f16 v94, v56, 0xbbdd, v80
	v_pk_fma_f16 v91, 0xb1e1bbf7, v36, v91 op_sel:[0,0,1] op_sel_hi:[1,1,0] neg_lo:[0,1,0] neg_hi:[0,1,0]
	v_add_f16_e32 v31, v90, v31
	v_pk_mul_f16 v93, 0xbacd3722, v46
	v_add_f16_sdwa v96, v87, v30 dst_sel:DWORD dst_unused:UNUSED_PAD src0_sel:WORD_1 src1_sel:DWORD
	v_add_f16_e32 v30, v94, v5
	v_pk_fma_f16 v92, 0x3836bbb2, v38, v92 op_sel:[0,0,1] op_sel_hi:[1,1,0] neg_lo:[0,1,0] neg_hi:[0,1,0]
	v_add_f16_e32 v5, v91, v31
	v_pk_fma_f16 v86, 0x3b29b836, v44, v93 op_sel:[0,0,1] op_sel_hi:[1,1,0]
	v_pk_fma_f16 v97, 0x3bb2ba62, v42, v33 op_sel:[0,0,1] op_sel_hi:[1,1,0] neg_lo:[0,1,0] neg_hi:[0,1,0]
	v_mul_f16_sdwa v99, v53, v127 dst_sel:DWORD dst_unused:UNUSED_PAD src0_sel:WORD_1 src1_sel:DWORD
	v_lshrrev_b32_e32 v103, 16, v56
	v_add_f16_e32 v5, v92, v5
	v_add_f16_sdwa v31, v86, v96 dst_sel:DWORD dst_unused:UNUSED_PAD src0_sel:WORD_1 src1_sel:DWORD
	v_pk_mul_f16 v96, 0xbbdd3b76, v56
	v_mul_f16_e32 v100, 0x35c8, v53
	v_mul_f16_e32 v102, 0xb836, v53
	v_pk_fma_f16 v93, 0x3b29b836, v44, v93 op_sel:[0,0,1] op_sel_hi:[1,1,0] neg_lo:[0,1,0] neg_hi:[0,1,0]
	v_add_f16_e32 v5, v97, v5
	v_fmamk_f16 v101, v56, 0xbacd, v99
	v_pk_fma_f16 v94, 0x35c8b1e1, v53, v96 op_sel:[0,0,1] op_sel_hi:[1,1,0]
	v_fma_f16 v33, v103, 0x3b76, -v100
	v_fma_f16 v106, v103, 0xbacd, -v102
	v_pk_fma_f16 v96, 0x35c8b1e1, v53, v96 op_sel:[0,0,1] op_sel_hi:[1,1,0] neg_lo:[0,1,0] neg_hi:[0,1,0]
	v_add_f16_e32 v112, v93, v5
	v_add_f16_e32 v5, v101, v6
	v_add_f16_sdwa v6, v94, v31 dst_sel:DWORD dst_unused:UNUSED_PAD src0_sel:WORD_1 src1_sel:DWORD
	v_add_f16_e32 v32, v33, v32
	v_add_f16_e32 v33, v106, v29
	;; [unrolled: 1-line block ×3, first 2 shown]
	v_mul_lo_u16 v29, v27, 17
	s_barrier
	buffer_gl0_inv
	s_and_saveexec_b32 s4, vcc_lo
	s_cbranch_execz .LBB0_7
; %bb.6:
	v_mul_f16_e32 v121, 0x2de8, v67
	v_mul_f16_e32 v120, 0xbbdd, v20
	v_mul_f16_sdwa v117, v17, v110 dst_sel:DWORD dst_unused:UNUSED_PAD src0_sel:WORD_1 src1_sel:DWORD
	v_mul_f16_e32 v118, 0xb461, v70
	v_mul_f16_sdwa v114, v22, v128 dst_sel:DWORD dst_unused:UNUSED_PAD src0_sel:WORD_1 src1_sel:DWORD
	v_fmamk_f16 v101, v17, 0x3bf7, v121
	v_fmamk_f16 v113, v22, 0x31e1, v120
	;; [unrolled: 1-line block ×3, first 2 shown]
	v_mul_f16_e32 v116, 0x3b76, v76
	v_mul_f16_sdwa v112, v34, v126 dst_sel:DWORD dst_unused:UNUSED_PAD src0_sel:WORD_1 src1_sel:DWORD
	v_add_f16_sdwa v101, v101, v9 dst_sel:DWORD dst_unused:UNUSED_PAD src0_sel:DWORD src1_sel:WORD_1
	v_mov_b32_e32 v115, 0x35c8
	v_fmamk_f16 v119, v66, 0xbbdd, v114
	v_add_f16_e32 v106, v106, v9
	v_fmamk_f16 v123, v34, 0xbbb2, v118
	v_add_f16_e32 v101, v113, v101
	v_mul_f16_e32 v122, 0x3722, v82
	v_fmamk_f16 v113, v35, 0xb461, v112
	v_add_f16_e32 v106, v119, v106
	v_mul_f16_sdwa v119, v36, v115 dst_sel:DWORD dst_unused:UNUSED_PAD src0_sel:WORD_1 src1_sel:DWORD
	v_add_f16_e32 v101, v123, v101
	v_fmamk_f16 v123, v36, 0xb5c8, v116
	v_fmamk_f16 v124, v38, 0x3b29, v122
	v_add_f16_e32 v106, v113, v106
	v_mul_f16_sdwa v115, v38, v105 dst_sel:DWORD dst_unused:UNUSED_PAD src0_sel:WORD_1 src1_sel:DWORD
	v_fmamk_f16 v113, v37, 0x3b76, v119
	v_add_f16_e32 v101, v123, v101
	v_mul_f16_e32 v123, 0xbacd, v88
	v_mul_f16_e32 v130, 0xb461, v67
	v_fmamk_f16 v125, v39, 0x3722, v115
	v_add_f16_e32 v106, v113, v106
	v_add_f16_e32 v101, v124, v101
	v_fmamk_f16 v129, v42, 0x3836, v123
	v_mul_f16_e32 v124, 0xb8d2, v98
	v_mul_f16_sdwa v113, v42, v127 dst_sel:DWORD dst_unused:UNUSED_PAD src0_sel:WORD_1 src1_sel:DWORD
	v_fmamk_f16 v132, v17, 0x3bb2, v130
	v_mul_f16_e32 v133, 0xbacd, v20
	v_add_f16_e32 v106, v125, v106
	v_add_f16_e32 v101, v129, v101
	v_fmamk_f16 v125, v44, 0xba62, v124
	v_mul_f16_e32 v129, 0x39e9, v103
	v_fmamk_f16 v131, v43, 0xbacd, v113
	v_add_f16_sdwa v132, v132, v9 dst_sel:DWORD dst_unused:UNUSED_PAD src0_sel:DWORD src1_sel:WORD_1
	v_fmamk_f16 v135, v22, 0xb836, v133
	v_add_f16_e32 v101, v125, v101
	v_fmamk_f16 v125, v53, 0xb964, v129
	v_mov_b32_e32 v134, 0x3a62
	v_add_f16_e32 v106, v131, v106
	v_mul_f16_e32 v131, 0x39e9, v70
	v_add_f16_e32 v132, v135, v132
	v_mul_f16_sdwa v135, v17, v108 dst_sel:DWORD dst_unused:UNUSED_PAD src0_sel:WORD_1 src1_sel:DWORD
	v_mov_b32_e32 v136, 0x3836
	v_add_f16_e32 v101, v125, v101
	v_mul_f16_sdwa v125, v44, v134 dst_sel:DWORD dst_unused:UNUSED_PAD src0_sel:WORD_1 src1_sel:DWORD
	v_fmamk_f16 v137, v34, 0xb964, v131
	v_mul_f16_e32 v138, 0x3722, v76
	v_fmamk_f16 v140, v21, 0xb461, v135
	v_mul_f16_sdwa v136, v22, v136 dst_sel:DWORD dst_unused:UNUSED_PAD src0_sel:WORD_1 src1_sel:DWORD
	v_fmamk_f16 v139, v46, 0xb8d2, v125
	v_add_f16_e32 v132, v137, v132
	v_fmamk_f16 v137, v36, 0x3b29, v138
	v_mul_f16_e32 v141, 0xbbdd, v82
	v_add_f16_e32 v140, v140, v9
	v_fmamk_f16 v142, v66, 0xbacd, v136
	v_mul_f16_sdwa v143, v34, v111 dst_sel:DWORD dst_unused:UNUSED_PAD src0_sel:WORD_1 src1_sel:DWORD
	v_add_f16_e32 v106, v139, v106
	v_add_f16_e32 v132, v137, v132
	v_fmamk_f16 v137, v38, 0x31e1, v141
	v_add_f16_e32 v139, v142, v140
	v_fmamk_f16 v140, v35, 0x39e9, v143
	v_mul_f16_sdwa v142, v36, v105 dst_sel:DWORD dst_unused:UNUSED_PAD src0_sel:WORD_1 src1_sel:DWORD
	v_mul_f16_e32 v147, 0x3b76, v98
	v_add_f16_e32 v105, v137, v132
	v_mul_f16_e32 v132, 0x2de8, v88
	v_add_f16_e32 v137, v140, v139
	v_fmamk_f16 v139, v37, 0x3722, v142
	v_mul_f16_sdwa v140, v38, v128 dst_sel:DWORD dst_unused:UNUSED_PAD src0_sel:WORD_1 src1_sel:DWORD
	v_mov_b32_e32 v145, 0x3bf7
	v_fmamk_f16 v146, v42, 0xbbf7, v132
	v_mul_f16_sdwa v144, v53, v111 dst_sel:DWORD dst_unused:UNUSED_PAD src0_sel:WORD_1 src1_sel:DWORD
	v_add_f16_e32 v137, v139, v137
	v_fmamk_f16 v139, v39, 0xbbdd, v140
	v_mul_f16_sdwa v148, v42, v145 dst_sel:DWORD dst_unused:UNUSED_PAD src0_sel:WORD_1 src1_sel:DWORD
	v_add_f16_e32 v105, v146, v105
	v_fmamk_f16 v146, v44, 0x35c8, v147
	v_mul_f16_e32 v149, 0xb8d2, v103
	v_add_f16_e32 v137, v139, v137
	v_mul_f16_e32 v139, 0xb8d2, v67
	v_mul_f16_e32 v153, 0xb461, v20
	v_add_f16_e32 v146, v146, v105
	v_fmamk_f16 v150, v43, 0x2de8, v148
	v_mul_f16_sdwa v151, v44, v104 dst_sel:DWORD dst_unused:UNUSED_PAD src0_sel:WORD_1 src1_sel:DWORD
	v_fmamk_f16 v105, v17, 0x3a62, v139
	v_fmamk_f16 v152, v56, 0x39e9, v144
	;; [unrolled: 1-line block ×4, first 2 shown]
	v_mul_f16_e32 v157, 0x3b76, v70
	v_add_f16_sdwa v155, v105, v9 dst_sel:DWORD dst_unused:UNUSED_PAD src0_sel:DWORD src1_sel:WORD_1
	v_add_f16_e32 v137, v150, v137
	v_fmamk_f16 v150, v46, 0x3b76, v151
	v_mul_f16_sdwa v158, v53, v107 dst_sel:DWORD dst_unused:UNUSED_PAD src0_sel:WORD_1 src1_sel:DWORD
	v_add_f16_e32 v105, v152, v106
	v_add_f16_e32 v106, v154, v146
	;; [unrolled: 1-line block ×3, first 2 shown]
	v_fmamk_f16 v152, v34, 0x35c8, v157
	v_mul_f16_e32 v154, 0xbacd, v76
	v_add_f16_e32 v137, v150, v137
	v_fmamk_f16 v150, v56, 0xb8d2, v158
	v_mul_f16_e32 v156, 0x2de8, v82
	v_add_f16_e32 v146, v152, v146
	v_fmamk_f16 v152, v36, 0x3836, v154
	v_mul_f16_sdwa v155, v17, v107 dst_sel:DWORD dst_unused:UNUSED_PAD src0_sel:WORD_1 src1_sel:DWORD
	v_add_f16_e32 v107, v150, v137
	v_fmamk_f16 v150, v38, 0xbbf7, v156
	v_mul_f16_sdwa v126, v22, v126 dst_sel:DWORD dst_unused:UNUSED_PAD src0_sel:WORD_1 src1_sel:DWORD
	v_add_f16_e32 v146, v152, v146
	v_mul_f16_e32 v152, 0x39e9, v88
	v_fmamk_f16 v137, v21, 0xb8d2, v155
	v_mul_f16_e32 v161, 0xbbdd, v98
	v_fmamk_f16 v159, v66, 0xb461, v126
	v_add_f16_e32 v146, v150, v146
	v_fmamk_f16 v150, v42, 0x3964, v152
	v_add_f16_e32 v137, v137, v9
	v_mul_f16_sdwa v160, v34, v104 dst_sel:DWORD dst_unused:UNUSED_PAD src0_sel:WORD_1 src1_sel:DWORD
	v_mul_f16_e32 v163, 0x3722, v103
	v_mul_f16_sdwa v162, v36, v127 dst_sel:DWORD dst_unused:UNUSED_PAD src0_sel:WORD_1 src1_sel:DWORD
	v_add_f16_e32 v146, v150, v146
	v_fmamk_f16 v150, v44, 0x31e1, v161
	v_add_f16_e32 v137, v159, v137
	v_fmamk_f16 v159, v35, 0x3b76, v160
	v_mul_f16_e32 v164, 0xbacd, v67
	v_mul_f16_sdwa v145, v38, v145 dst_sel:DWORD dst_unused:UNUSED_PAD src0_sel:WORD_1 src1_sel:DWORD
	v_add_f16_e32 v146, v150, v146
	v_fmamk_f16 v150, v53, 0xbb29, v163
	v_add_f16_e32 v137, v159, v137
	v_fmamk_f16 v159, v37, 0xbacd, v162
	v_mul_f16_sdwa v165, v42, v109 dst_sel:DWORD dst_unused:UNUSED_PAD src0_sel:WORD_1 src1_sel:DWORD
	v_mul_f16_e32 v168, 0x2de8, v70
	v_add_f16_e32 v109, v150, v146
	v_fmamk_f16 v146, v17, 0x3836, v164
	v_mul_f16_e32 v150, 0x3722, v20
	v_add_f16_e32 v137, v159, v137
	v_fmamk_f16 v159, v39, 0x2de8, v145
	v_mul_f16_sdwa v166, v44, v128 dst_sel:DWORD dst_unused:UNUSED_PAD src0_sel:WORD_1 src1_sel:DWORD
	v_add_f16_sdwa v146, v146, v9 dst_sel:DWORD dst_unused:UNUSED_PAD src0_sel:DWORD src1_sel:WORD_1
	v_fmamk_f16 v167, v22, 0xbb29, v150
	v_mul_f16_e32 v170, 0xb8d2, v76
	v_add_f16_e32 v137, v159, v137
	v_fmamk_f16 v159, v43, 0x39e9, v165
	v_mov_b32_e32 v169, 0x3b29
	v_add_f16_e32 v146, v167, v146
	v_fmamk_f16 v167, v34, 0x3bf7, v168
	v_mul_f16_sdwa v127, v17, v127 dst_sel:DWORD dst_unused:UNUSED_PAD src0_sel:WORD_1 src1_sel:DWORD
	v_add_f16_e32 v137, v159, v137
	v_fmamk_f16 v159, v46, 0xbbdd, v166
	v_mul_f16_e32 v171, 0x3b76, v82
	v_add_f16_e32 v146, v167, v146
	v_fmamk_f16 v167, v36, 0xba62, v170
	v_fmamk_f16 v173, v21, 0xbacd, v127
	v_add_f16_e32 v137, v159, v137
	v_mul_f16_sdwa v159, v53, v169 dst_sel:DWORD dst_unused:UNUSED_PAD src0_sel:WORD_1 src1_sel:DWORD
	v_mul_f16_sdwa v169, v22, v169 dst_sel:DWORD dst_unused:UNUSED_PAD src0_sel:WORD_1 src1_sel:DWORD
	v_add_f16_e32 v146, v167, v146
	v_fmamk_f16 v167, v38, 0x35c8, v171
	v_mul_f16_e32 v174, 0xbbdd, v88
	v_fmamk_f16 v172, v56, 0x3722, v159
	v_add_f16_e32 v173, v173, v9
	v_fmamk_f16 v175, v66, 0x3722, v169
	v_add_f16_e32 v146, v167, v146
	v_fmamk_f16 v167, v42, 0x31e1, v174
	v_fmac_f16_e32 v164, 0xb836, v17
	v_mul_f16_sdwa v176, v34, v110 dst_sel:DWORD dst_unused:UNUSED_PAD src0_sel:WORD_1 src1_sel:DWORD
	v_add_f16_e32 v110, v172, v137
	v_add_f16_e32 v137, v175, v173
	;; [unrolled: 1-line block ×3, first 2 shown]
	v_mul_f16_e32 v167, 0x39e9, v98
	v_mul_f16_sdwa v173, v38, v104 dst_sel:DWORD dst_unused:UNUSED_PAD src0_sel:WORD_1 src1_sel:DWORD
	v_add_f16_sdwa v104, v164, v9 dst_sel:DWORD dst_unused:UNUSED_PAD src0_sel:DWORD src1_sel:WORD_1
	v_fmac_f16_e32 v150, 0x3b29, v22
	v_fmac_f16_e32 v168, 0xbbf7, v34
	v_fmamk_f16 v164, v44, 0xb964, v167
	v_fmac_f16_e32 v170, 0x3a62, v36
	v_fma_f16 v127, v21, 0xbacd, -v127
	v_add_f16_e32 v104, v150, v104
	v_mul_f16_e32 v150, 0xb461, v103
	v_add_f16_e32 v146, v164, v146
	v_fmac_f16_e32 v139, 0xba62, v17
	v_add_f16_e32 v127, v127, v9
	v_add_f16_e32 v104, v168, v104
	v_fmamk_f16 v164, v53, 0x3bb2, v150
	v_fmamk_f16 v172, v35, 0x2de8, v176
	v_mul_f16_sdwa v134, v36, v134 dst_sel:DWORD dst_unused:UNUSED_PAD src0_sel:WORD_1 src1_sel:DWORD
	v_add_f16_sdwa v139, v139, v9 dst_sel:DWORD dst_unused:UNUSED_PAD src0_sel:DWORD src1_sel:WORD_1
	v_add_f16_e32 v170, v170, v104
	v_add_f16_e32 v104, v164, v146
	v_fma_f16 v164, v66, 0x3722, -v169
	v_fmac_f16_e32 v153, 0x3bb2, v22
	v_add_f16_e32 v137, v172, v137
	v_fmamk_f16 v172, v37, 0xb8d2, v134
	v_fma_f16 v134, v37, 0xb8d2, -v134
	v_add_f16_e32 v127, v164, v127
	v_fma_f16 v164, v35, 0x2de8, -v176
	v_add_f16_e32 v139, v153, v139
	v_fmac_f16_e32 v157, 0xb5c8, v34
	v_add_f16_e32 v137, v172, v137
	v_fmamk_f16 v172, v39, 0x3b76, v173
	v_add_f16_e32 v127, v164, v127
	v_mul_f16_sdwa v128, v42, v128 dst_sel:DWORD dst_unused:UNUSED_PAD src0_sel:WORD_1 src1_sel:DWORD
	v_add_f16_e32 v139, v157, v139
	v_fmac_f16_e32 v154, 0xb836, v36
	v_add_f16_e32 v137, v172, v137
	v_add_f16_e32 v127, v134, v127
	v_fma_f16 v134, v39, 0x3b76, -v173
	v_fmamk_f16 v172, v43, 0xbbdd, v128
	v_mul_f16_sdwa v111, v44, v111 dst_sel:DWORD dst_unused:UNUSED_PAD src0_sel:WORD_1 src1_sel:DWORD
	v_fma_f16 v128, v43, 0xbbdd, -v128
	v_fmac_f16_e32 v156, 0x3bf7, v38
	v_add_f16_e32 v127, v134, v127
	v_add_f16_e32 v134, v154, v139
	v_fmamk_f16 v168, v46, 0x39e9, v111
	v_fma_f16 v111, v46, 0x39e9, -v111
	v_fmac_f16_e32 v152, 0xb964, v42
	v_add_f16_e32 v127, v128, v127
	v_add_f16_e32 v128, v156, v134
	;; [unrolled: 1-line block ×3, first 2 shown]
	v_mul_f16_sdwa v108, v53, v108 dst_sel:DWORD dst_unused:UNUSED_PAD src0_sel:WORD_1 src1_sel:DWORD
	v_fmac_f16_e32 v130, 0xbbb2, v17
	v_add_f16_e32 v111, v111, v127
	v_add_f16_e32 v127, v152, v128
	v_fmac_f16_e32 v161, 0xb1e1, v44
	v_add_f16_e32 v137, v168, v137
	v_fmamk_f16 v168, v56, 0xb461, v108
	v_add_f16_sdwa v130, v130, v9 dst_sel:DWORD dst_unused:UNUSED_PAD src0_sel:DWORD src1_sel:WORD_1
	v_fmac_f16_e32 v133, 0x3836, v22
	v_fma_f16 v108, v56, 0xb461, -v108
	v_add_f16_e32 v127, v161, v127
	v_fmac_f16_e32 v163, 0x3b29, v53
	v_fmac_f16_e32 v131, 0x3964, v34
	v_add_f16_e32 v130, v133, v130
	v_add_f16_e32 v108, v108, v111
	v_fmac_f16_e32 v121, 0xbbf7, v17
	v_add_f16_e32 v111, v163, v127
	v_fma_f16 v127, v21, 0xb461, -v135
	v_add_f16_e32 v130, v131, v130
	v_fma_f16 v131, v66, 0xbacd, -v136
	v_fma_f16 v117, v21, 0x2de8, -v117
	v_add_f16_sdwa v121, v121, v9 dst_sel:DWORD dst_unused:UNUSED_PAD src0_sel:DWORD src1_sel:WORD_1
	v_add_f16_e32 v127, v127, v9
	v_fmac_f16_e32 v120, 0xb1e1, v22
	v_fma_f16 v114, v66, 0xbbdd, -v114
	v_add_f16_e32 v117, v117, v9
	v_fmac_f16_e32 v118, 0x3bb2, v34
	v_add_f16_e32 v127, v131, v127
	v_fma_f16 v131, v35, 0x39e9, -v143
	v_add_f16_e32 v120, v120, v121
	v_add_f16_e32 v114, v114, v117
	v_fma_f16 v112, v35, 0xb461, -v112
	v_fmac_f16_e32 v116, 0x35c8, v36
	v_add_f16_e32 v121, v131, v127
	v_fma_f16 v127, v37, 0x3722, -v142
	v_add_f16_e32 v118, v118, v120
	v_add_f16_e32 v112, v112, v114
	v_alignbit_b32 v114, v9, v9, 16
	v_alignbit_b32 v50, v50, v50, 16
	v_add_f16_e32 v120, v127, v121
	v_fma_f16 v121, v39, 0xbbdd, -v140
	v_add_f16_e32 v116, v116, v118
	v_pk_add_f16 v10, v10, v114 op_sel:[0,1] op_sel_hi:[1,0]
	v_fmac_f16_e32 v122, 0xbb29, v38
	v_fma_f16 v119, v37, 0x3b76, -v119
	v_add_f16_e32 v118, v121, v120
	v_fma_f16 v120, v43, 0x2de8, -v148
	v_pk_add_f16 v10, v50, v10
	v_add_f16_e32 v116, v122, v116
	v_fmac_f16_e32 v123, 0xb836, v42
	v_add_f16_e32 v112, v119, v112
	v_add_f16_e32 v117, v120, v118
	v_fma_f16 v118, v46, 0x3b76, -v151
	v_mul_f16_e32 v119, 0x3722, v21
	v_fma_f16 v122, v56, 0xb8d2, -v158
	v_fma_f16 v115, v39, 0x3722, -v115
	v_pk_add_f16 v10, v18, v10
	v_add_f16_e32 v117, v118, v117
	v_fma_f16 v126, v66, 0xb461, -v126
	v_add_f16_e32 v116, v123, v116
	v_fmac_f16_e32 v124, 0x3a62, v44
	v_mul_f16_e32 v120, 0x39e9, v67
	v_add_f16_e32 v117, v122, v117
	v_mul_f16_e32 v122, 0x39e9, v66
	v_add_f16_e32 v112, v115, v112
	v_mul_f16_e32 v115, 0xb8d2, v20
	v_mul_f16_e32 v66, 0xb8d2, v66
	v_fma_f16 v113, v43, 0xbacd, -v113
	v_sub_f16_e32 v55, v119, v55
	v_pk_add_f16 v10, v15, v10
	v_mul_f16_e32 v118, 0x3b76, v21
	v_add_f16_e32 v116, v124, v116
	v_mul_f16_e32 v67, 0x3722, v67
	v_mul_f16_e32 v123, 0x2de8, v20
	v_add_f16_e32 v69, v69, v115
	v_mul_f16_e32 v115, 0xb8d2, v70
	;; [unrolled: 3-line block ×3, first 2 shown]
	v_fma_f16 v124, v46, 0xb8d2, -v125
	v_add_f16_e32 v55, v55, v9
	v_sub_f16_e32 v60, v66, v60
	v_add_f16_e32 v49, v49, v120
	v_pk_add_f16 v10, v16, v10
	v_fma_f16 v153, v21, 0xb8d2, -v155
	v_add_f16_e32 v63, v63, v67
	v_add_f16_e32 v70, v73, v70
	v_mul_f16_e32 v73, 0xbbdd, v76
	v_mul_f16_e32 v76, 0xb461, v76
	v_add_f16_e32 v112, v124, v112
	v_mul_f16_e32 v124, 0xb461, v37
	v_fma_f16 v125, v56, 0x39e9, -v144
	v_add_f16_e32 v55, v60, v55
	v_sub_f16_e32 v61, v113, v61
	v_add_f16_sdwa v49, v49, v9 dst_sel:DWORD dst_unused:UNUSED_PAD src0_sel:DWORD src1_sel:WORD_1
	v_add_f16_e32 v52, v52, v123
	v_sub_f16_e32 v40, v118, v40
	v_pk_add_f16 v10, v13, v10
	v_add_f16_e32 v153, v153, v9
	v_mul_f16_e32 v67, 0x3722, v35
	v_add_f16_sdwa v63, v63, v9 dst_sel:DWORD dst_unused:UNUSED_PAD src0_sel:DWORD src1_sel:WORD_1
	v_add_f16_e32 v76, v79, v76
	v_mul_f16_e32 v79, 0xbacd, v82
	v_mul_f16_e32 v82, 0x39e9, v82
	v_add_f16_e32 v112, v125, v112
	v_mul_f16_e32 v125, 0x39e9, v39
	v_add_f16_e32 v55, v61, v55
	v_sub_f16_e32 v57, v124, v57
	v_add_f16_e32 v49, v52, v49
	v_add_f16_e32 v47, v47, v115
	;; [unrolled: 1-line block ×3, first 2 shown]
	v_sub_f16_e32 v13, v122, v41
	v_pk_add_f16 v10, v14, v10
	v_add_f16_e32 v63, v69, v63
	v_mul_f16_e32 v69, 0x2de8, v37
	v_add_f16_e32 v82, v84, v82
	v_mul_f16_e32 v84, 0xb461, v88
	v_mul_f16_e32 v119, 0x3b76, v43
	;; [unrolled: 1-line block ×3, first 2 shown]
	v_add_f16_e32 v50, v57, v55
	v_sub_f16_e32 v52, v125, v64
	v_add_f16_e32 v47, v47, v49
	v_add_f16_e32 v18, v54, v73
	v_add_f16_e32 v9, v13, v9
	v_sub_f16_e32 v13, v67, v45
	v_pk_add_f16 v10, v11, v10
	v_add_f16_e32 v63, v70, v63
	v_mul_f16_e32 v70, 0xb461, v39
	v_add_f16_e32 v88, v95, v88
	v_mul_f16_e32 v95, 0x2de8, v46
	v_add_f16_e32 v49, v52, v50
	v_sub_f16_e32 v50, v119, v68
	v_add_f16_e32 v15, v18, v47
	v_add_f16_e32 v18, v62, v79
	;; [unrolled: 1-line block ×3, first 2 shown]
	v_sub_f16_e32 v13, v69, v48
	v_pk_add_f16 v10, v12, v10
	v_add_f16_e32 v63, v76, v63
	v_mul_f16_e32 v76, 0xb8d2, v43
	v_mul_f16_e32 v66, 0x3722, v98
	;; [unrolled: 1-line block ×3, first 2 shown]
	v_add_f16_e32 v47, v50, v49
	v_sub_f16_e32 v16, v95, v78
	v_add_f16_e32 v15, v18, v15
	v_add_f16_e32 v18, v65, v84
	;; [unrolled: 1-line block ×3, first 2 shown]
	v_sub_f16_e32 v13, v70, v51
	v_pk_add_f16 v7, v7, v10
	v_mul_f16_e32 v120, 0x3b76, v103
	v_add_f16_e32 v16, v16, v47
	v_add_f16_e32 v15, v18, v15
	;; [unrolled: 1-line block ×3, first 2 shown]
	v_sub_f16_e32 v14, v113, v99
	v_bfi_b32 v10, 0xffff, v71, v85
	v_add_f16_e32 v9, v13, v9
	v_pk_add_f16 v7, v8, v7
	v_sub_f16_e32 v8, v76, v58
	v_add_f16_e32 v63, v82, v63
	v_mul_f16_e32 v82, 0xbacd, v46
	v_add_f16_e32 v15, v18, v15
	v_add_f16_e32 v11, v100, v120
	v_add_f16_e32 v12, v14, v16
	v_bfi_b32 v14, 0xffff, v72, v89
	v_pk_add_f16 v2, v2, v7
	v_add_f16_e32 v7, v8, v9
	v_pk_add_f16 v8, v10, v114
	v_mul_f16_e32 v60, 0xbbdd, v56
	v_add_f16_e32 v11, v11, v15
	v_bfi_b32 v15, 0xffff, v75, v90
	v_sub_f16_e32 v9, v82, v59
	v_pk_add_f16 v2, v3, v2
	v_pk_add_f16 v8, v14, v8
	v_add_f16_e32 v126, v126, v153
	v_fma_f16 v139, v35, 0x3b76, -v160
	v_bfi_b32 v13, 0xffff, v77, v91
	v_add_f16_e32 v7, v9, v7
	v_sub_f16_e32 v9, v60, v80
	v_pk_add_f16 v0, v0, v2
	v_and_b32_e32 v2, 0xffff, v29
	v_pk_add_f16 v8, v15, v8
	v_pk_mul_f16 v14, 0xbbdd, v21 op_sel_hi:[0,1]
	v_add_f16_e32 v126, v139, v126
	v_fma_f16 v134, v37, 0xbacd, -v162
	v_bfi_b32 v16, 0xffff, v83, v92
	v_add_f16_e32 v7, v9, v7
	v_pk_add_f16 v0, v1, v0
	v_add_lshl_u32 v1, v26, v2, 2
	v_pk_add_f16 v2, v13, v8
	v_pk_fma_f16 v8, 0xb1e1, v17, v14 op_sel:[0,0,1] op_sel_hi:[0,1,0] neg_lo:[0,1,0] neg_hi:[0,1,0]
	v_pk_mul_f16 v9, 0x35c8, v22 op_sel_hi:[0,1]
	v_pk_fma_f16 v13, 0xb1e1, v17, v14 op_sel:[0,0,1] op_sel_hi:[0,1,0]
	v_add_f16_e32 v126, v134, v126
	v_fma_f16 v128, v39, 0x2de8, -v145
	v_bfi_b32 v40, 0xffff, v87, v97
	v_pk_add_f16 v2, v16, v2
	v_pk_add_f16 v8, v8, v114
	v_pk_fma_f16 v14, 0x3b76, v20, v9 op_sel_hi:[0,1,1] neg_lo:[0,0,1] neg_hi:[0,0,1]
	v_pk_mul_f16 v15, 0xbacd, v35 op_sel_hi:[0,1]
	v_pk_add_f16 v13, v13, v114
	v_pk_fma_f16 v9, 0x3b76, v20, v9 op_sel_hi:[0,1,1]
	v_add_f16_e32 v126, v128, v126
	v_fma_f16 v128, v43, 0x39e9, -v165
	v_bfi_b32 v10, 0xffff, v86, v93
	v_pk_add_f16 v2, v40, v2
	v_pk_add_f16 v8, v14, v8
	v_pk_fma_f16 v14, 0xb836, v34, v15 op_sel:[0,0,1] op_sel_hi:[0,1,0] neg_lo:[0,1,0] neg_hi:[0,1,0]
	v_pk_mul_f16 v16, 0x39e9, v37 op_sel_hi:[0,1]
	v_pk_add_f16 v9, v9, v13
	v_pk_fma_f16 v13, 0xb836, v34, v15 op_sel:[0,0,1] op_sel_hi:[0,1,0]
	v_add_f16_e32 v126, v128, v126
	v_fma_f16 v128, v46, 0xbbdd, -v166
	v_fmac_f16_e32 v138, 0xbb29, v36
	v_bfi_b32 v3, 0xffff, v94, v96
	v_pk_add_f16 v2, v10, v2
	v_pk_add_f16 v8, v14, v8
	v_pk_fma_f16 v10, 0x3964, v36, v16 op_sel:[0,0,1] op_sel_hi:[0,1,0] neg_lo:[0,1,0] neg_hi:[0,1,0]
	v_pk_mul_f16 v14, 0xb8d2, v39 op_sel_hi:[0,1]
	v_pk_add_f16 v9, v13, v9
	v_pk_fma_f16 v13, 0x3964, v36, v16 op_sel:[0,0,1] op_sel_hi:[0,1,0]
	v_add_f16_e32 v126, v128, v126
	v_add_f16_e32 v128, v138, v130
	v_fmac_f16_e32 v141, 0xb1e1, v38
	v_fmac_f16_e32 v171, 0xb5c8, v38
	v_pk_add_f16 v2, v3, v2
	v_pk_add_f16 v3, v10, v8
	v_pk_fma_f16 v8, 0xba62, v38, v14 op_sel:[0,0,1] op_sel_hi:[0,1,0] neg_lo:[0,1,0] neg_hi:[0,1,0]
	v_pk_mul_f16 v10, 0x3722, v43 op_sel_hi:[0,1]
	v_pk_add_f16 v9, v13, v9
	v_pk_fma_f16 v13, 0xba62, v38, v14 op_sel:[0,0,1] op_sel_hi:[0,1,0]
	v_mul_f16_e32 v98, 0x2de8, v98
	v_add_f16_e32 v128, v141, v128
	v_fmac_f16_e32 v132, 0x3bf7, v42
	v_add_f16_e32 v146, v171, v170
	v_fmac_f16_e32 v174, 0xb1e1, v42
	v_pk_add_f16 v3, v8, v3
	v_pk_fma_f16 v8, 0x3b29, v42, v10 op_sel:[0,0,1] op_sel_hi:[0,1,0] neg_lo:[0,1,0] neg_hi:[0,1,0]
	v_pk_mul_f16 v14, 0xb461, v46 op_sel_hi:[0,1]
	v_pk_add_f16 v9, v13, v9
	v_pk_fma_f16 v10, 0x3b29, v42, v10 op_sel:[0,0,1] op_sel_hi:[0,1,0]
	v_mul_f16_e32 v103, 0xbacd, v103
	v_add_f16_e32 v63, v88, v63
	v_add_f16_e32 v61, v81, v98
	;; [unrolled: 1-line block ×3, first 2 shown]
	v_fmac_f16_e32 v147, 0xb5c8, v44
	v_add_f16_e32 v146, v174, v146
	v_fmac_f16_e32 v167, 0x3964, v44
	v_alignbit_b32 v11, v11, v2, 16
	v_pack_b32_f16 v2, v7, v2
	v_pk_add_f16 v3, v8, v3
	v_pk_fma_f16 v7, 0xbbb2, v44, v14 op_sel:[0,0,1] op_sel_hi:[0,1,0] neg_lo:[0,1,0] neg_hi:[0,1,0]
	v_pk_mul_f16 v8, 0x2de8, v56 op_sel_hi:[0,1]
	v_pk_add_f16 v9, v10, v9
	v_pk_fma_f16 v10, 0xbbb2, v44, v14 op_sel:[0,0,1] op_sel_hi:[0,1,0]
	v_fmac_f16_e32 v129, 0x3964, v53
	v_add_f16_e32 v55, v61, v63
	v_add_f16_e32 v52, v102, v103
	v_fma_f16 v130, v56, 0x3722, -v159
	v_add_f16_e32 v128, v147, v128
	v_fmac_f16_e32 v149, 0xba62, v53
	v_add_f16_e32 v146, v167, v146
	v_fmac_f16_e32 v150, 0xbbb2, v53
	v_pk_add_f16 v3, v7, v3
	v_pk_fma_f16 v7, 0x3bf7, v53, v8 op_sel:[0,0,1] op_sel_hi:[0,1,0] neg_lo:[0,1,0] neg_hi:[0,1,0]
	v_pk_add_f16 v9, v10, v9
	v_pk_fma_f16 v8, 0x3bf7, v53, v8 op_sel:[0,0,1] op_sel_hi:[0,1,0]
	v_add_f16_e32 v116, v129, v116
	v_add_f16_e32 v18, v52, v55
	;; [unrolled: 1-line block ×5, first 2 shown]
	v_pk_add_f16 v3, v7, v3
	v_pk_add_f16 v7, v8, v9
	v_add_f16_e32 v137, v168, v137
	v_pack_b32_f16 v12, v12, v18
	v_pack_b32_f16 v13, v112, v116
	;; [unrolled: 1-line block ×4, first 2 shown]
	v_pk_add_f16 v0, v19, v0
	v_pack_b32_f16 v15, v108, v139
	ds_write2_b32 v1, v2, v11 offset0:1 offset1:2
	ds_write2_b32 v1, v12, v13 offset0:3 offset1:4
	;; [unrolled: 1-line block ×3, first 2 shown]
	ds_write2_b32 v1, v0, v15 offset1:7
	v_alignbit_b32 v0, v3, v7, 16
	v_alignbit_b32 v2, v7, v3, 16
	v_pack_b32_f16 v3, v110, v109
	v_pack_b32_f16 v7, v137, v104
	;; [unrolled: 1-line block ×4, first 2 shown]
	v_perm_b32 v10, v32, v6, 0x5040100
	v_perm_b32 v11, v33, v5, 0x5040100
	;; [unrolled: 1-line block ×3, first 2 shown]
	ds_write2_b32 v1, v2, v0 offset0:8 offset1:9
	ds_write2_b32 v1, v7, v3 offset0:10 offset1:11
	;; [unrolled: 1-line block ×4, first 2 shown]
	ds_write_b32 v1, v12 offset:64
.LBB0_7:
	s_or_b32 exec_lo, exec_lo, s4
	v_mul_u32_u24_e32 v0, 6, v27
	s_load_dwordx4 s[4:7], s[2:3], 0x0
	s_waitcnt lgkmcnt(0)
	s_barrier
	buffer_gl0_inv
	v_lshlrev_b32_e32 v35, 2, v0
	v_add_lshl_u32 v34, v26, v27, 2
	v_mul_i32_i24_e32 v37, 0xffffffec, v27
	v_mul_hi_i32_i24_e32 v36, 0xffffffec, v27
	s_clause 0x1
	global_load_dwordx4 v[0:3], v35, s[0:1]
	global_load_dwordx2 v[7:8], v35, s[0:1] offset:16
	ds_read2_b32 v[9:10], v34 offset0:34 offset1:51
	ds_read2_b32 v[11:12], v34 offset0:68 offset1:85
	;; [unrolled: 1-line block ×6, first 2 shown]
	v_add_co_u32 v35, s0, s0, v35
	v_add_co_ci_u32_e64 v38, null, s1, 0, s0
	ds_read2_b32 v[21:22], v34 offset1:17
	v_add_co_u32 v43, s0, v35, v37
	v_add_co_ci_u32_e64 v44, s0, v38, v36, s0
	s_waitcnt vmcnt(0) lgkmcnt(0)
	s_barrier
	buffer_gl0_inv
	v_lshrrev_b32_e32 v35, 16, v9
	v_lshrrev_b32_e32 v36, 16, v11
	;; [unrolled: 1-line block ×12, first 2 shown]
	v_mul_f16_sdwa v49, v35, v0 dst_sel:DWORD dst_unused:UNUSED_PAD src0_sel:DWORD src1_sel:WORD_1
	v_mul_f16_sdwa v50, v9, v0 dst_sel:DWORD dst_unused:UNUSED_PAD src0_sel:DWORD src1_sel:WORD_1
	;; [unrolled: 1-line block ×24, first 2 shown]
	v_fma_f16 v9, v9, v0, -v49
	v_fmac_f16_e32 v50, v35, v0
	v_fma_f16 v11, v11, v1, -v51
	v_fmac_f16_e32 v52, v36, v1
	;; [unrolled: 2-line block ×12, first 2 shown]
	v_add_f16_e32 v35, v9, v19
	v_add_f16_e32 v36, v50, v60
	;; [unrolled: 1-line block ×4, first 2 shown]
	v_sub_f16_e32 v9, v9, v19
	v_sub_f16_e32 v19, v50, v60
	;; [unrolled: 1-line block ×4, first 2 shown]
	v_add_f16_e32 v39, v13, v15
	v_add_f16_e32 v40, v54, v56
	v_sub_f16_e32 v13, v15, v13
	v_sub_f16_e32 v15, v56, v54
	v_add_f16_e32 v41, v10, v20
	v_add_f16_e32 v42, v62, v72
	;; [unrolled: 1-line block ×4, first 2 shown]
	v_sub_f16_e32 v10, v10, v20
	v_sub_f16_e32 v20, v62, v72
	;; [unrolled: 1-line block ×4, first 2 shown]
	v_add_f16_e32 v47, v14, v16
	v_sub_f16_e32 v14, v16, v14
	v_sub_f16_e32 v16, v68, v66
	v_add_f16_e32 v49, v37, v35
	v_add_f16_e32 v50, v38, v36
	;; [unrolled: 1-line block ×3, first 2 shown]
	v_sub_f16_e32 v51, v37, v35
	v_sub_f16_e32 v52, v38, v36
	;; [unrolled: 1-line block ×6, first 2 shown]
	v_add_f16_e32 v53, v13, v11
	v_add_f16_e32 v54, v15, v17
	v_sub_f16_e32 v55, v13, v11
	v_sub_f16_e32 v56, v15, v17
	;; [unrolled: 1-line block ×4, first 2 shown]
	v_add_f16_e32 v57, v45, v41
	v_add_f16_e32 v58, v46, v42
	v_sub_f16_e32 v59, v45, v41
	v_sub_f16_e32 v45, v47, v45
	v_add_f16_e32 v61, v14, v12
	v_add_f16_e32 v62, v16, v18
	v_sub_f16_e32 v63, v14, v12
	v_sub_f16_e32 v64, v16, v18
	;; [unrolled: 1-line block ×4, first 2 shown]
	v_add_f16_e32 v39, v39, v49
	v_add_f16_e32 v40, v40, v50
	v_sub_f16_e32 v13, v9, v13
	v_sub_f16_e32 v15, v19, v15
	v_sub_f16_e32 v60, v46, v42
	v_sub_f16_e32 v41, v41, v47
	v_sub_f16_e32 v42, v42, v48
	v_sub_f16_e32 v46, v48, v46
	v_add_f16_e32 v9, v53, v9
	v_add_f16_e32 v19, v54, v19
	v_mul_f16_e32 v35, 0x3a52, v35
	v_mul_f16_e32 v36, 0x3a52, v36
	;; [unrolled: 1-line block ×8, first 2 shown]
	v_add_f16_e32 v47, v47, v57
	v_add_f16_e32 v48, v48, v58
	v_sub_f16_e32 v14, v10, v14
	v_sub_f16_e32 v16, v20, v16
	v_add_f16_e32 v10, v61, v10
	v_add_f16_e32 v20, v62, v20
	v_mul_f16_e32 v57, 0x2b26, v45
	v_mul_f16_e32 v61, 0xb846, v63
	;; [unrolled: 1-line block ×5, first 2 shown]
	v_add_f16_e32 v65, v21, v39
	v_add_f16_sdwa v21, v21, v40 dst_sel:DWORD dst_unused:UNUSED_PAD src0_sel:WORD_1 src1_sel:DWORD
	v_mul_f16_e32 v41, 0x3a52, v41
	v_mul_f16_e32 v42, 0x3a52, v42
	;; [unrolled: 1-line block ×3, first 2 shown]
	v_fmamk_f16 v37, v37, 0x2b26, v35
	v_fmamk_f16 v38, v38, 0x2b26, v36
	v_fma_f16 v49, v51, 0x39e0, -v49
	v_fma_f16 v50, v52, 0x39e0, -v50
	v_fma_f16 v35, v51, 0xb9e0, -v35
	v_fma_f16 v36, v52, 0xb9e0, -v36
	v_fmamk_f16 v51, v13, 0x3574, v53
	v_fmamk_f16 v52, v15, 0x3574, v54
	v_fma_f16 v11, v11, 0x3b00, -v53
	v_fma_f16 v17, v17, 0x3b00, -v54
	;; [unrolled: 1-line block ×4, first 2 shown]
	v_add_f16_e32 v53, v22, v47
	v_add_f16_sdwa v22, v22, v48 dst_sel:DWORD dst_unused:UNUSED_PAD src0_sel:WORD_1 src1_sel:DWORD
	v_fma_f16 v54, v59, 0x39e0, -v57
	v_fmamk_f16 v56, v14, 0x3574, v61
	v_fmamk_f16 v57, v16, 0x3574, v62
	v_fma_f16 v12, v12, 0x3b00, -v61
	v_fma_f16 v18, v18, 0x3b00, -v62
	;; [unrolled: 1-line block ×4, first 2 shown]
	v_fmamk_f16 v39, v39, 0xbcab, v65
	v_fmamk_f16 v40, v40, 0xbcab, v21
	;; [unrolled: 1-line block ×4, first 2 shown]
	v_fma_f16 v55, v60, 0x39e0, -v58
	v_fma_f16 v41, v59, 0xb9e0, -v41
	;; [unrolled: 1-line block ×3, first 2 shown]
	v_fmac_f16_e32 v51, 0x370e, v9
	v_fmac_f16_e32 v52, 0x370e, v19
	;; [unrolled: 1-line block ×6, first 2 shown]
	v_fmamk_f16 v9, v47, 0xbcab, v53
	v_fmamk_f16 v19, v48, 0xbcab, v22
	v_fmac_f16_e32 v56, 0x370e, v10
	v_fmac_f16_e32 v57, 0x370e, v20
	;; [unrolled: 1-line block ×6, first 2 shown]
	v_pack_b32_f16 v10, v65, v21
	v_pack_b32_f16 v20, v53, v22
	v_add_f16_e32 v21, v37, v39
	v_add_f16_e32 v22, v38, v40
	;; [unrolled: 1-line block ×13, first 2 shown]
	v_sub_f16_e32 v42, v22, v51
	v_add_f16_e32 v47, v15, v35
	v_sub_f16_e32 v48, v36, v13
	v_sub_f16_e32 v49, v37, v17
	v_add_f16_e32 v50, v11, v38
	v_add_f16_e32 v17, v17, v37
	v_sub_f16_e32 v11, v38, v11
	v_sub_f16_e32 v15, v35, v15
	v_add_f16_e32 v13, v13, v36
	v_sub_f16_e32 v21, v21, v52
	v_add_f16_e32 v22, v51, v22
	v_add_f16_e32 v35, v57, v39
	v_sub_f16_e32 v36, v40, v56
	v_add_f16_e32 v37, v16, v9
	v_sub_f16_e32 v38, v19, v14
	v_sub_f16_e32 v51, v45, v18
	v_add_f16_e32 v52, v12, v46
	v_add_f16_e32 v18, v18, v45
	v_sub_f16_e32 v12, v46, v12
	v_sub_f16_e32 v9, v9, v16
	v_add_f16_e32 v14, v14, v19
	v_sub_f16_e32 v16, v39, v57
	v_add_f16_e32 v19, v56, v40
	v_pack_b32_f16 v39, v41, v42
	v_pack_b32_f16 v40, v47, v48
	;; [unrolled: 1-line block ×12, first 2 shown]
	ds_write2_b32 v34, v10, v39 offset1:17
	ds_write2_b32 v34, v40, v41 offset0:34 offset1:51
	ds_write2_b32 v34, v11, v13 offset0:68 offset1:85
	;; [unrolled: 1-line block ×6, first 2 shown]
	s_waitcnt lgkmcnt(0)
	s_barrier
	buffer_gl0_inv
	s_clause 0x6
	global_load_dword v40, v[43:44], off offset:408
	global_load_dword v42, v[43:44], off offset:476
	;; [unrolled: 1-line block ×7, first 2 shown]
	ds_read2_b32 v[44:45], v34 offset1:17
	ds_read2_b32 v[11:12], v34 offset0:102 offset1:119
	ds_read2_b32 v[9:10], v34 offset0:136 offset1:153
	ds_read2_b32 v[46:47], v34 offset0:34 offset1:51
	ds_read2_b32 v[13:14], v34 offset0:170 offset1:187
	ds_read2_b32 v[62:63], v34 offset0:68 offset1:85
	ds_read2_b32 v[15:16], v34 offset0:204 offset1:221
	v_lshl_add_u32 v35, v27, 2, v28
	v_add_nc_u32_e32 v43, v24, v28
	s_waitcnt lgkmcnt(6)
	v_lshrrev_b32_e32 v17, 16, v44
	s_waitcnt lgkmcnt(5)
	v_lshrrev_b32_e32 v18, 16, v12
	;; [unrolled: 2-line block ×3, first 2 shown]
	v_lshrrev_b32_e32 v21, 16, v10
	s_waitcnt lgkmcnt(2)
	v_lshrrev_b32_e32 v22, 16, v13
	v_lshrrev_b32_e32 v48, 16, v14
	s_waitcnt lgkmcnt(0)
	v_lshrrev_b32_e32 v49, 16, v15
	v_lshrrev_b32_e32 v50, 16, v16
	;; [unrolled: 1-line block ×8, first 2 shown]
	s_waitcnt vmcnt(6)
	v_mul_f16_sdwa v51, v18, v40 dst_sel:DWORD dst_unused:UNUSED_PAD src0_sel:DWORD src1_sel:WORD_1
	v_mul_f16_sdwa v53, v12, v40 dst_sel:DWORD dst_unused:UNUSED_PAD src0_sel:DWORD src1_sel:WORD_1
	s_waitcnt vmcnt(5)
	v_mul_f16_sdwa v55, v20, v42 dst_sel:DWORD dst_unused:UNUSED_PAD src0_sel:DWORD src1_sel:WORD_1
	v_mul_f16_sdwa v57, v9, v42 dst_sel:DWORD dst_unused:UNUSED_PAD src0_sel:DWORD src1_sel:WORD_1
	;; [unrolled: 3-line block ×7, first 2 shown]
	v_fma_f16 v12, v12, v40, -v51
	v_fmac_f16_e32 v53, v18, v40
	v_fma_f16 v9, v9, v42, -v55
	v_fmac_f16_e32 v57, v20, v42
	;; [unrolled: 2-line block ×7, first 2 shown]
	v_sub_f16_e32 v10, v44, v12
	v_sub_f16_e32 v59, v17, v53
	;; [unrolled: 1-line block ×14, first 2 shown]
	v_fma_f16 v9, v44, 2.0, -v10
	v_fma_f16 v48, v17, 2.0, -v59
	v_fma_f16 v15, v45, 2.0, -v16
	v_fma_f16 v61, v19, 2.0, -v57
	v_fma_f16 v21, v46, 2.0, -v22
	v_fma_f16 v60, v52, 2.0, -v55
	v_pack_b32_f16 v44, v10, v59
	v_pack_b32_f16 v45, v16, v57
	v_fma_f16 v19, v47, 2.0, -v20
	v_fma_f16 v58, v54, 2.0, -v53
	;; [unrolled: 1-line block ×8, first 2 shown]
	v_pack_b32_f16 v65, v9, v48
	v_pack_b32_f16 v66, v15, v61
	ds_write2_b32 v35, v44, v45 offset0:119 offset1:136
	v_pack_b32_f16 v44, v21, v60
	v_pack_b32_f16 v46, v22, v55
	;; [unrolled: 1-line block ×10, first 2 shown]
	ds_write2_b32 v35, v65, v66 offset1:17
	ds_write_b32 v35, v44 offset:136
	ds_write_b32 v43, v46 offset:612
	;; [unrolled: 1-line block ×10, first 2 shown]
	s_waitcnt lgkmcnt(0)
	s_barrier
	buffer_gl0_inv
	s_and_saveexec_b32 s2, vcc_lo
	s_cbranch_execz .LBB0_9
; %bb.8:
	s_add_u32 s0, s12, 0x3b8
	s_addc_u32 s1, s13, 0
	s_clause 0x10
	global_load_dword v74, v24, s[12:13] offset:952
	global_load_dword v75, v24, s[0:1] offset:56
	;; [unrolled: 1-line block ×17, first 2 shown]
	ds_read2_b32 v[44:45], v35 offset1:14
	ds_read2_b32 v[46:47], v35 offset0:28 offset1:42
	ds_read2_b32 v[62:63], v35 offset0:56 offset1:70
	;; [unrolled: 1-line block ×7, first 2 shown]
	ds_read_b32 v91, v35 offset:896
	s_waitcnt lgkmcnt(8)
	v_lshrrev_b32_e32 v92, 16, v44
	v_lshrrev_b32_e32 v93, 16, v45
	s_waitcnt lgkmcnt(7)
	v_lshrrev_b32_e32 v94, 16, v46
	v_lshrrev_b32_e32 v95, 16, v47
	;; [unrolled: 3-line block ×8, first 2 shown]
	s_waitcnt lgkmcnt(0)
	v_lshrrev_b32_e32 v108, 16, v91
	s_waitcnt vmcnt(16)
	v_mul_f16_sdwa v109, v92, v74 dst_sel:DWORD dst_unused:UNUSED_PAD src0_sel:DWORD src1_sel:WORD_1
	v_mul_f16_sdwa v110, v44, v74 dst_sel:DWORD dst_unused:UNUSED_PAD src0_sel:DWORD src1_sel:WORD_1
	s_waitcnt vmcnt(15)
	v_mul_f16_sdwa v111, v93, v75 dst_sel:DWORD dst_unused:UNUSED_PAD src0_sel:DWORD src1_sel:WORD_1
	v_mul_f16_sdwa v112, v45, v75 dst_sel:DWORD dst_unused:UNUSED_PAD src0_sel:DWORD src1_sel:WORD_1
	;; [unrolled: 3-line block ×17, first 2 shown]
	v_fma_f16 v44, v44, v74, -v109
	v_fmac_f16_e32 v110, v92, v74
	v_fma_f16 v45, v45, v75, -v111
	v_fmac_f16_e32 v112, v93, v75
	;; [unrolled: 2-line block ×17, first 2 shown]
	v_pack_b32_f16 v44, v44, v110
	v_pack_b32_f16 v45, v45, v112
	;; [unrolled: 1-line block ×17, first 2 shown]
	ds_write2_b32 v35, v44, v45 offset1:14
	ds_write2_b32 v35, v46, v47 offset0:28 offset1:42
	ds_write2_b32 v35, v62, v63 offset0:56 offset1:70
	;; [unrolled: 1-line block ×7, first 2 shown]
	ds_write_b32 v35, v74 offset:896
.LBB0_9:
	s_or_b32 exec_lo, exec_lo, s2
	s_waitcnt lgkmcnt(0)
	s_barrier
	buffer_gl0_inv
	s_and_saveexec_b32 s0, vcc_lo
	s_cbranch_execz .LBB0_11
; %bb.10:
	ds_read2_b32 v[9:10], v35 offset1:14
	ds_read2_b32 v[15:16], v35 offset0:28 offset1:42
	ds_read2_b32 v[21:22], v35 offset0:56 offset1:70
	;; [unrolled: 1-line block ×7, first 2 shown]
	ds_read_b32 v30, v35 offset:896
	s_waitcnt lgkmcnt(8)
	v_lshrrev_b32_e32 v48, 16, v9
	v_lshrrev_b32_e32 v59, 16, v10
	s_waitcnt lgkmcnt(7)
	v_lshrrev_b32_e32 v61, 16, v15
	v_lshrrev_b32_e32 v57, 16, v16
	s_waitcnt lgkmcnt(6)
	v_lshrrev_b32_e32 v60, 16, v21
	v_lshrrev_b32_e32 v55, 16, v22
	s_waitcnt lgkmcnt(5)
	v_lshrrev_b32_e32 v58, 16, v19
	v_lshrrev_b32_e32 v53, 16, v20
	s_waitcnt lgkmcnt(4)
	v_lshrrev_b32_e32 v56, 16, v17
	v_lshrrev_b32_e32 v51, 16, v18
	s_waitcnt lgkmcnt(3)
	v_lshrrev_b32_e32 v54, 16, v13
	v_lshrrev_b32_e32 v50, 16, v14
	s_waitcnt lgkmcnt(2)
	v_lshrrev_b32_e32 v52, 16, v11
	v_lshrrev_b32_e32 v49, 16, v12
	s_waitcnt lgkmcnt(1)
	v_lshrrev_b32_e32 v33, 16, v5
	v_lshrrev_b32_e32 v32, 16, v6
	s_waitcnt lgkmcnt(0)
	v_lshrrev_b32_e32 v31, 16, v30
.LBB0_11:
	s_or_b32 exec_lo, exec_lo, s0
	v_add_nc_u32_e32 v47, 0x88, v43
	v_add_nc_u32_e32 v46, 0xcc, v43
	;; [unrolled: 1-line block ×5, first 2 shown]
	s_barrier
	buffer_gl0_inv
	s_and_saveexec_b32 s0, vcc_lo
	s_cbranch_execz .LBB0_13
; %bb.12:
	v_sub_f16_e32 v67, v10, v30
	v_add_f16_e32 v98, v31, v59
	v_sub_f16_e32 v66, v15, v6
	v_add_f16_e32 v97, v32, v61
	v_sub_f16_e32 v62, v16, v5
	v_mul_f16_e32 v107, 0xbbf7, v67
	v_add_f16_e32 v96, v33, v57
	v_mul_f16_e32 v108, 0xb1e1, v66
	v_sub_f16_e32 v63, v21, v12
	v_mul_f16_e32 v110, 0x3bb2, v62
	v_fmamk_f16 v65, v98, 0x2de8, v107
	v_add_f16_e32 v85, v49, v60
	v_fmamk_f16 v68, v97, 0xbbdd, v108
	v_sub_f16_e32 v64, v22, v11
	v_mul_f16_e32 v106, 0x35c8, v63
	v_add_f16_e32 v69, v48, v65
	v_fmamk_f16 v70, v96, 0xb461, v110
	v_add_f16_e32 v83, v52, v55
	v_sub_f16_e32 v65, v19, v14
	v_sub_f16_e32 v86, v59, v31
	v_add_f16_e32 v68, v68, v69
	v_mul_f16_e32 v111, 0xbb29, v64
	v_fmamk_f16 v71, v85, 0x3b76, v106
	v_add_f16_e32 v82, v50, v58
	v_add_f16_e32 v69, v30, v10
	;; [unrolled: 1-line block ×3, first 2 shown]
	v_sub_f16_e32 v87, v61, v32
	v_mul_f16_e32 v112, 0xb836, v65
	v_mul_f16_e32 v118, 0xbbf7, v86
	v_fmamk_f16 v72, v83, 0x3722, v111
	v_add_f16_e32 v68, v71, v68
	v_add_f16_e32 v70, v6, v15
	v_mul_f16_e32 v117, 0xb1e1, v87
	v_fmamk_f16 v71, v82, 0xbacd, v112
	v_fma_f16 v73, v69, 0x2de8, -v118
	v_add_f16_e32 v72, v72, v68
	v_sub_f16_e32 v88, v57, v33
	v_sub_f16_e32 v68, v20, v13
	v_fma_f16 v74, v70, 0xbbdd, -v117
	v_add_f16_e32 v73, v9, v73
	v_add_f16_e32 v75, v71, v72
	v_add_f16_e32 v72, v5, v16
	v_mul_f16_e32 v119, 0x3bb2, v88
	v_sub_f16_e32 v90, v60, v49
	v_mul_f16_e32 v109, 0x3a62, v68
	v_add_f16_e32 v89, v54, v53
	v_add_f16_e32 v74, v74, v73
	v_fma_f16 v76, v72, 0xb461, -v119
	v_add_f16_e32 v73, v12, v21
	v_mul_f16_e32 v114, 0x35c8, v90
	v_sub_f16_e32 v92, v55, v52
	v_mul_f16_e32 v123, 0xbbb2, v67
	v_fmamk_f16 v77, v89, 0xb8d2, v109
	v_add_f16_e32 v76, v76, v74
	v_fma_f16 v78, v73, 0x3b76, -v114
	v_add_f16_e32 v74, v11, v22
	v_mul_f16_e32 v115, 0xbb29, v92
	v_sub_f16_e32 v93, v58, v50
	v_fmamk_f16 v79, v98, 0xb461, v123
	v_mul_f16_e32 v131, 0x3836, v66
	v_add_f16_e32 v75, v77, v75
	v_add_f16_e32 v77, v78, v76
	v_fma_f16 v78, v74, 0x3722, -v115
	v_add_f16_e32 v76, v14, v19
	v_mul_f16_e32 v121, 0xb836, v93
	v_sub_f16_e32 v95, v53, v54
	v_add_f16_e32 v79, v48, v79
	v_fmamk_f16 v81, v97, 0xbacd, v131
	v_mul_f16_e32 v132, 0x3964, v62
	v_sub_f16_e32 v71, v17, v18
	v_add_f16_e32 v78, v78, v77
	v_fma_f16 v80, v76, 0xbacd, -v121
	v_add_f16_e32 v77, v13, v20
	v_mul_f16_e32 v122, 0x3a62, v95
	v_add_f16_e32 v79, v81, v79
	v_fmamk_f16 v81, v96, 0x39e9, v132
	v_mul_f16_e32 v124, 0xbb29, v63
	v_mul_f16_e32 v113, 0x3964, v71
	v_add_f16_e32 v91, v51, v56
	v_add_f16_e32 v78, v80, v78
	v_fma_f16 v80, v77, 0xb8d2, -v122
	v_sub_f16_e32 v99, v56, v51
	v_add_f16_e32 v79, v81, v79
	v_fmamk_f16 v81, v85, 0x3722, v124
	v_mul_f16_e32 v128, 0xb1e1, v64
	v_mul_f16_e32 v133, 0xbbb2, v86
	v_fmamk_f16 v84, v91, 0x39e9, v113
	v_add_f16_e32 v80, v80, v78
	v_add_f16_e32 v78, v18, v17
	v_mul_f16_e32 v116, 0x3964, v99
	v_add_f16_e32 v79, v81, v79
	v_fmamk_f16 v81, v83, 0xbbdd, v128
	v_mul_f16_e32 v134, 0x3bf7, v65
	v_fma_f16 v94, v69, 0xb461, -v133
	v_mul_f16_e32 v135, 0x3836, v87
	v_add_f16_e32 v75, v84, v75
	v_fma_f16 v84, v78, 0x39e9, -v116
	v_add_f16_e32 v79, v81, v79
	v_fmamk_f16 v81, v82, 0x2de8, v134
	v_add_f16_e32 v94, v9, v94
	v_fma_f16 v100, v70, 0xbacd, -v135
	v_mul_f16_e32 v130, 0x3964, v88
	v_mul_f16_e32 v127, 0xb5c8, v68
	v_add_f16_e32 v81, v81, v79
	v_add_f16_e32 v79, v84, v80
	;; [unrolled: 1-line block ×3, first 2 shown]
	v_fma_f16 v84, v72, 0x39e9, -v130
	v_mul_f16_e32 v136, 0xbb29, v90
	v_mul_f16_e32 v105, 0xba62, v67
	v_fmamk_f16 v101, v89, 0x3b76, v127
	v_mul_f16_e32 v137, 0xb1e1, v92
	v_add_f16_e32 v80, v84, v80
	v_fma_f16 v84, v73, 0x3722, -v136
	v_fmamk_f16 v100, v98, 0xb8d2, v105
	v_mul_f16_e32 v120, 0x3bb2, v66
	v_add_f16_e32 v81, v101, v81
	v_mul_f16_e32 v125, 0xba62, v71
	v_add_f16_e32 v80, v84, v80
	v_fma_f16 v84, v74, 0xbbdd, -v137
	v_mul_f16_e32 v138, 0x3bf7, v93
	v_add_f16_e32 v100, v48, v100
	v_fmamk_f16 v101, v97, 0xb461, v120
	v_mul_f16_e32 v139, 0xb5c8, v62
	v_fmamk_f16 v94, v91, 0xb8d2, v125
	v_add_f16_e32 v80, v84, v80
	v_fma_f16 v84, v76, 0x2de8, -v138
	v_add_f16_e32 v100, v101, v100
	v_fmamk_f16 v101, v96, 0x3b76, v139
	v_mul_f16_e32 v140, 0xb836, v63
	v_mul_f16_e32 v141, 0x3bf7, v64
	v_add_f16_e32 v84, v84, v80
	v_add_f16_e32 v80, v94, v81
	;; [unrolled: 1-line block ×3, first 2 shown]
	v_fmamk_f16 v94, v85, 0xbacd, v140
	v_mul_f16_e32 v129, 0xb5c8, v95
	v_mul_f16_e32 v142, 0xba62, v86
	;; [unrolled: 1-line block ×4, first 2 shown]
	v_add_f16_e32 v81, v94, v81
	v_fmamk_f16 v94, v83, 0x2de8, v141
	v_fma_f16 v102, v77, 0x3b76, -v129
	v_fma_f16 v101, v69, 0xb8d2, -v142
	v_mul_f16_e32 v144, 0x3bb2, v87
	v_mul_f16_e32 v145, 0xb1e1, v68
	v_add_f16_e32 v81, v94, v81
	v_fmamk_f16 v94, v82, 0x39e9, v143
	v_add_f16_e32 v84, v102, v84
	v_fma_f16 v100, v78, 0xb8d2, -v126
	v_add_f16_e32 v101, v9, v101
	v_fma_f16 v102, v70, 0xb461, -v144
	v_mul_f16_e32 v146, 0xb5c8, v88
	v_add_f16_e32 v94, v94, v81
	v_fmamk_f16 v103, v89, 0xbbdd, v145
	v_add_f16_e32 v81, v100, v84
	v_add_f16_e32 v84, v102, v101
	v_fma_f16 v100, v72, 0x3b76, -v146
	v_mul_f16_e32 v147, 0xb836, v90
	v_add_f16_e32 v94, v103, v94
	v_mul_f16_e32 v103, 0xb836, v67
	v_mul_f16_e32 v149, 0x3bf7, v92
	v_add_f16_e32 v84, v100, v84
	v_fma_f16 v100, v73, 0xbacd, -v147
	v_mul_f16_e32 v104, 0x3b29, v66
	v_fmamk_f16 v102, v98, 0xbacd, v103
	v_mul_f16_e32 v148, 0x3b29, v71
	v_mul_f16_e32 v150, 0xb964, v93
	v_add_f16_e32 v84, v100, v84
	v_fma_f16 v100, v74, 0x2de8, -v149
	v_add_f16_e32 v102, v48, v102
	v_fmamk_f16 v151, v97, 0x3722, v104
	v_mul_f16_e32 v152, 0xbbf7, v62
	v_fmamk_f16 v101, v91, 0x3722, v148
	v_add_f16_e32 v84, v100, v84
	v_fma_f16 v100, v76, 0x39e9, -v150
	v_mul_f16_e32 v153, 0xb1e1, v95
	v_add_f16_e32 v102, v151, v102
	v_fmamk_f16 v151, v96, 0x2de8, v152
	v_mul_f16_e32 v154, 0x3a62, v63
	v_add_f16_e32 v100, v100, v84
	v_fma_f16 v155, v77, 0xbbdd, -v153
	v_add_f16_e32 v84, v101, v94
	v_add_f16_e32 v94, v151, v102
	v_fmamk_f16 v101, v85, 0xb8d2, v154
	v_mul_f16_e32 v151, 0xb5c8, v64
	v_mul_f16_e32 v156, 0xb836, v86
	v_add_f16_e32 v100, v155, v100
	v_mul_f16_e32 v155, 0x3b29, v99
	v_add_f16_e32 v94, v101, v94
	v_fmamk_f16 v101, v83, 0x3b76, v151
	v_mul_f16_e32 v157, 0xb1e1, v65
	v_fma_f16 v158, v69, 0xbacd, -v156
	v_mul_f16_e32 v159, 0x3b29, v87
	v_fma_f16 v102, v78, 0x3722, -v155
	v_add_f16_e32 v94, v101, v94
	v_fmamk_f16 v101, v82, 0xbbdd, v157
	v_mul_f16_e32 v160, 0x3964, v68
	v_add_f16_e32 v158, v9, v158
	v_fma_f16 v161, v70, 0x3722, -v159
	v_mul_f16_e32 v162, 0xbbf7, v88
	v_add_f16_e32 v101, v101, v94
	v_fmamk_f16 v163, v89, 0x39e9, v160
	v_add_f16_e32 v94, v102, v100
	v_add_f16_e32 v100, v161, v158
	v_fma_f16 v102, v72, 0x2de8, -v162
	v_mul_f16_e32 v158, 0x3a62, v90
	v_add_f16_e32 v101, v163, v101
	v_mul_f16_e32 v163, 0xb1e1, v67
	v_mul_f16_e32 v164, 0xb5c8, v92
	v_add_f16_e32 v100, v102, v100
	v_fma_f16 v102, v73, 0xb8d2, -v158
	v_mul_f16_e32 v167, 0x35c8, v66
	v_fmamk_f16 v166, v98, 0xbbdd, v163
	v_mul_f16_e32 v168, 0xb1e1, v93
	v_mul_f16_e32 v161, 0xbbb2, v71
	v_add_f16_e32 v100, v102, v100
	v_fma_f16 v102, v74, 0x3b76, -v164
	v_add_f16_e32 v166, v48, v166
	v_fmamk_f16 v169, v97, 0x3b76, v167
	v_mul_f16_e32 v170, 0xb836, v62
	v_mul_f16_e32 v171, 0x3964, v95
	v_add_f16_e32 v100, v102, v100
	v_fma_f16 v102, v76, 0xbbdd, -v168
	v_fmamk_f16 v165, v91, 0xb461, v161
	v_add_f16_e32 v166, v169, v166
	v_fmamk_f16 v169, v96, 0xbacd, v170
	v_mul_f16_e32 v172, 0x3964, v63
	v_add_f16_e32 v102, v102, v100
	v_fma_f16 v173, v77, 0x39e9, -v171
	v_add_f16_e32 v100, v165, v101
	v_add_f16_e32 v101, v169, v166
	v_fmamk_f16 v165, v85, 0x39e9, v172
	v_mul_f16_e32 v166, 0xba62, v64
	v_add_f16_e32 v102, v173, v102
	v_mul_f16_e32 v173, 0xb1e1, v86
	v_mul_f16_e32 v169, 0xbbb2, v99
	v_add_f16_e32 v101, v165, v101
	v_fmamk_f16 v165, v83, 0xb8d2, v166
	v_mul_f16_e32 v174, 0x3b29, v65
	v_fma_f16 v176, v69, 0xbbdd, -v173
	v_mul_f16_e32 v177, 0x35c8, v87
	v_fma_f16 v175, v78, 0xb461, -v169
	v_add_f16_e32 v101, v165, v101
	v_fmamk_f16 v165, v82, 0x3722, v174
	v_mul_f16_e32 v178, 0xbbb2, v68
	v_add_f16_e32 v176, v9, v176
	v_fma_f16 v179, v70, 0x3b76, -v177
	v_mul_f16_e32 v180, 0xb836, v88
	v_add_f16_e32 v165, v165, v101
	v_fmamk_f16 v181, v89, 0xb461, v178
	v_add_f16_e32 v101, v175, v102
	v_add_f16_e32 v102, v179, v176
	v_fma_f16 v175, v72, 0xbacd, -v180
	v_mul_f16_e32 v176, 0x3964, v90
	v_mul_f16_e32 v179, 0x3bf7, v71
	v_fma_f16 v163, v98, 0xbbdd, -v163
	v_add_f16_e32 v165, v181, v165
	v_add_f16_e32 v102, v175, v102
	v_fma_f16 v175, v73, 0x39e9, -v176
	v_fmamk_f16 v182, v91, 0x2de8, v179
	v_add_f16_e32 v163, v48, v163
	v_fma_f16 v167, v97, 0x3b76, -v167
	v_fmac_f16_e32 v173, 0xbbdd, v69
	v_add_f16_e32 v175, v175, v102
	v_add_f16_e32 v102, v182, v165
	v_fma_f16 v165, v96, 0xbacd, -v170
	v_add_f16_e32 v163, v167, v163
	v_fma_f16 v103, v98, 0xbacd, -v103
	v_fma_f16 v104, v97, 0x3722, -v104
	;; [unrolled: 1-line block ×4, first 2 shown]
	v_add_f16_e32 v163, v165, v163
	v_fma_f16 v165, v85, 0x39e9, -v172
	v_add_f16_e32 v172, v9, v173
	v_add_f16_e32 v173, v48, v103
	v_fma_f16 v105, v98, 0xb8d2, -v105
	v_fma_f16 v120, v97, 0xb461, -v120
	v_fma_f16 v139, v96, 0x3b76, -v139
	v_fma_f16 v141, v83, 0x2de8, -v141
	v_add_f16_e32 v104, v104, v173
	v_fma_f16 v123, v98, 0xb461, -v123
	v_fma_f16 v131, v97, 0xbacd, -v131
	v_fma_f16 v132, v96, 0x39e9, -v132
	v_fma_f16 v124, v85, 0x3722, -v124
	;; [unrolled: 5-line block ×3, first 2 shown]
	v_fma_f16 v110, v96, 0xb461, -v110
	v_add_f16_e32 v152, v152, v104
	v_fma_f16 v127, v89, 0x3b76, -v127
	v_fmac_f16_e32 v118, 0x2de8, v69
	v_fma_f16 v106, v85, 0x3b76, -v106
	v_fmac_f16_e32 v156, 0xbacd, v69
	v_add_f16_e32 v151, v151, v152
	v_fma_f16 v152, v82, 0xbbdd, -v157
	v_add_f16_e32 v157, v48, v105
	v_fmac_f16_e32 v133, 0xb461, v69
	v_add_f16_e32 v118, v9, v118
	v_fmac_f16_e32 v117, 0xbbdd, v70
	v_fma_f16 v111, v83, 0x3722, -v111
	v_add_f16_e32 v120, v120, v157
	v_add_f16_e32 v156, v9, v156
	v_fmac_f16_e32 v159, 0x3722, v70
	v_add_f16_e32 v133, v9, v133
	v_fmac_f16_e32 v135, 0xbacd, v70
	v_add_f16_e32 v120, v139, v120
	v_fma_f16 v139, v85, 0xbacd, -v140
	v_add_f16_e32 v117, v117, v118
	v_fmac_f16_e32 v119, 0xb461, v72
	v_add_f16_e32 v156, v159, v156
	v_fmac_f16_e32 v162, 0x2de8, v72
	v_add_f16_e32 v139, v139, v120
	v_add_f16_e32 v133, v135, v133
	v_fmac_f16_e32 v130, 0x39e9, v72
	v_fmac_f16_e32 v114, 0x3b76, v73
	v_add_f16_e32 v156, v162, v156
	v_add_f16_e32 v139, v141, v139
	v_fma_f16 v141, v82, 0x39e9, -v143
	v_add_f16_e32 v143, v48, v123
	v_fmac_f16_e32 v158, 0xb8d2, v73
	v_fmac_f16_e32 v142, 0xb8d2, v69
	v_add_f16_e32 v130, v130, v133
	v_fmac_f16_e32 v136, 0x3722, v73
	v_add_f16_e32 v131, v131, v143
	v_fma_f16 v109, v89, 0xb8d2, -v109
	v_fmac_f16_e32 v115, 0x3722, v74
	v_add_f16_e32 v151, v152, v151
	v_fma_f16 v152, v89, 0x39e9, -v160
	v_add_f16_e32 v131, v132, v131
	v_add_f16_e32 v156, v158, v156
	v_fmac_f16_e32 v164, 0x3b76, v74
	v_add_f16_e32 v142, v9, v142
	v_fmac_f16_e32 v144, 0xb461, v70
	v_add_f16_e32 v131, v124, v131
	v_add_f16_e32 v130, v136, v130
	v_fmac_f16_e32 v137, 0xbbdd, v74
	v_add_f16_e32 v151, v152, v151
	v_add_f16_e32 v152, v164, v156
	;; [unrolled: 1-line block ×3, first 2 shown]
	v_fma_f16 v131, v82, 0x2de8, -v134
	v_fmac_f16_e32 v168, 0xbbdd, v76
	v_add_f16_e32 v142, v144, v142
	v_fmac_f16_e32 v146, 0x3b76, v72
	v_fmac_f16_e32 v138, 0x2de8, v76
	v_add_f16_e32 v128, v131, v128
	v_add_f16_e32 v131, v48, v107
	v_mul_f16_e32 v118, 0xb461, v85
	v_add_f16_e32 v140, v168, v152
	v_fmac_f16_e32 v171, 0x39e9, v77
	v_add_f16_e32 v127, v127, v128
	v_add_f16_e32 v108, v108, v131
	;; [unrolled: 1-line block ×4, first 2 shown]
	v_fmac_f16_e32 v147, 0xbacd, v73
	v_fmac_f16_e32 v129, 0x3b76, v77
	v_add_f16_e32 v108, v110, v108
	v_fma_f16 v110, v91, 0xb8d2, -v125
	v_add_f16_e32 v125, v138, v128
	v_add_f16_e32 v140, v171, v140
	v_fmac_f16_e32 v169, 0xb461, v78
	v_add_f16_e32 v108, v106, v108
	v_add_f16_e32 v106, v110, v127
	v_fma_f16 v110, v82, 0xbacd, -v112
	v_add_f16_e32 v112, v119, v117
	v_mul_f16_e32 v117, 0xb8d2, v97
	v_add_f16_e32 v108, v111, v108
	v_mul_f16_e32 v119, 0x39e9, v83
	v_add_f16_e32 v142, v147, v142
	v_add_f16_e32 v112, v114, v112
	v_fmac_f16_e32 v149, 0x2de8, v74
	v_add_f16_e32 v108, v110, v108
	v_mul_f16_e32 v110, 0x3722, v98
	v_add_f16_e32 v111, v129, v125
	v_mul_f16_e32 v125, 0x3b76, v82
	v_add_f16_e32 v123, v169, v140
	v_add_f16_e32 v108, v109, v108
	v_fmamk_f16 v114, v67, 0x3b29, v110
	v_add_f16_e32 v109, v115, v112
	v_mul_f16_e32 v115, 0xbbdd, v96
	v_add_f16_e32 v140, v149, v142
	v_fmac_f16_e32 v150, 0x39e9, v76
	v_add_f16_e32 v112, v48, v114
	v_fmamk_f16 v114, v66, 0x3a62, v117
	v_mul_f16_e32 v128, 0x2de8, v89
	v_fmac_f16_e32 v153, 0xbbdd, v77
	v_add_f16_e32 v132, v150, v140
	v_mul_f16_e32 v130, 0x39e9, v98
	v_add_f16_e32 v112, v114, v112
	v_fmamk_f16 v114, v62, 0xb1e1, v115
	v_fmac_f16_e32 v155, 0x3722, v78
	v_add_f16_e32 v132, v153, v132
	v_fmamk_f16 v133, v67, 0x3964, v130
	v_mul_f16_e32 v134, 0x2de8, v97
	v_add_f16_e32 v112, v114, v112
	v_fmamk_f16 v114, v63, 0xbbb2, v118
	v_add_f16_e32 v139, v141, v139
	v_fma_f16 v141, v89, 0xbbdd, -v145
	v_add_f16_e32 v107, v155, v132
	v_add_f16_e32 v133, v48, v133
	;; [unrolled: 1-line block ×3, first 2 shown]
	v_fmamk_f16 v114, v64, 0xb964, v119
	v_fmamk_f16 v136, v66, 0x3bf7, v134
	v_mul_f16_e32 v137, 0xb8d2, v96
	v_add_f16_e32 v139, v141, v139
	v_fma_f16 v141, v91, 0x3722, -v148
	v_add_f16_e32 v112, v114, v112
	v_fmamk_f16 v114, v65, 0x35c8, v125
	v_mul_f16_e32 v143, 0xb461, v82
	v_mul_f16_e32 v146, 0x3722, v89
	v_add_f16_e32 v124, v141, v139
	v_mul_f16_e32 v139, 0xbacd, v83
	v_add_f16_e32 v112, v114, v112
	v_fmamk_f16 v114, v68, 0x3bf7, v128
	v_mul_f16_e32 v98, 0x3b76, v98
	v_add_f16_e32 v10, v10, v9
	v_mul_f16_e32 v97, 0x39e9, v97
	v_mul_f16_e32 v96, 0x3722, v96
	v_add_f16_e32 v112, v114, v112
	v_mul_f16_e32 v114, 0xbacd, v91
	v_fmamk_f16 v150, v67, 0x35c8, v98
	v_add_f16_e32 v10, v15, v10
	v_add_f16_e32 v15, v59, v48
	v_fmamk_f16 v152, v66, 0x3964, v97
	v_fmamk_f16 v132, v71, 0x3836, v114
	v_add_f16_e32 v150, v48, v150
	v_add_f16_e32 v10, v16, v10
	;; [unrolled: 1-line block ×6, first 2 shown]
	v_fmamk_f16 v133, v62, 0x3a62, v137
	v_mul_f16_e32 v136, 0xbbdd, v85
	v_mul_f16_e32 v85, 0x2de8, v85
	v_add_f16_e32 v10, v21, v10
	v_add_f16_e32 v15, v57, v15
	;; [unrolled: 1-line block ×3, first 2 shown]
	v_fmamk_f16 v133, v63, 0x31e1, v136
	v_fma_f16 v165, v83, 0xb8d2, -v166
	v_fmamk_f16 v59, v63, 0x3bf7, v85
	v_mul_f16_e32 v83, 0xb461, v83
	v_add_f16_e32 v10, v22, v10
	v_add_f16_e32 v132, v133, v132
	v_fmamk_f16 v133, v64, 0xb836, v139
	v_add_f16_e32 v15, v60, v15
	v_mul_f16_e32 v21, 0xb5c8, v86
	v_add_f16_e32 v10, v19, v10
	v_mul_f16_e32 v57, 0xb8d2, v82
	v_add_f16_e32 v132, v133, v132
	v_fmamk_f16 v133, v65, 0xbbb2, v143
	v_add_f16_e32 v15, v55, v15
	v_fmamk_f16 v22, v69, 0x3b76, v21
	v_add_f16_e32 v10, v20, v10
	v_mul_f16_e32 v55, 0xbb29, v88
	v_add_f16_e32 v132, v133, v132
	v_fmamk_f16 v133, v68, 0xbb29, v146
	v_add_f16_e32 v15, v58, v15
	v_add_f16_e32 v19, v9, v22
	;; [unrolled: 1-line block ×3, first 2 shown]
	v_fmamk_f16 v20, v72, 0x3722, v55
	v_add_f16_e32 v132, v133, v132
	v_mul_f16_e32 v133, 0x3b76, v91
	v_add_f16_e32 v15, v53, v15
	v_mul_f16_e32 v17, 0xbbf7, v90
	v_add_f16_e32 v10, v18, v10
	v_fmamk_f16 v60, v65, 0x3a62, v57
	v_fmamk_f16 v149, v71, 0xb5c8, v133
	v_add_f16_e32 v15, v56, v15
	v_fmamk_f16 v18, v73, 0x2de8, v17
	v_add_f16_e32 v10, v13, v10
	v_fmac_f16_e32 v121, 0xbacd, v76
	v_add_f16_e32 v132, v149, v132
	v_add_f16_e32 v149, v152, v150
	v_fmamk_f16 v150, v62, 0x3b29, v96
	v_add_f16_e32 v13, v51, v15
	v_add_f16_e32 v10, v14, v10
	v_fma_f16 v113, v91, 0x39e9, -v113
	v_add_f16_e32 v109, v121, v109
	v_add_f16_e32 v149, v150, v149
	;; [unrolled: 1-line block ×4, first 2 shown]
	v_fmac_f16_e32 v122, 0xb8d2, v77
	v_add_f16_e32 v108, v113, v108
	v_add_f16_e32 v16, v59, v149
	v_fmamk_f16 v59, v64, 0x3bb2, v83
	v_add_f16_e32 v11, v50, v13
	v_mul_f16_e32 v13, 0xb836, v95
	v_mul_f16_e32 v113, 0xbb29, v86
	v_add_f16_e32 v10, v12, v10
	v_add_f16_e32 v16, v59, v16
	v_mul_f16_e32 v59, 0xb964, v87
	v_add_f16_e32 v11, v52, v11
	v_fmamk_f16 v12, v77, 0xbacd, v13
	v_mul_f16_e32 v181, 0xba62, v92
	v_add_f16_e32 v16, v60, v16
	v_fmamk_f16 v22, v70, 0x39e9, v59
	v_fmac_f16_e32 v126, 0xb8d2, v78
	v_add_f16_e32 v109, v122, v109
	v_fmamk_f16 v121, v69, 0x3722, v113
	v_mul_f16_e32 v122, 0xba62, v87
	v_add_f16_e32 v19, v22, v19
	v_mul_f16_e32 v22, 0xbacd, v89
	v_add_f16_e32 v5, v5, v10
	v_add_f16_e32 v10, v49, v11
	v_fma_f16 v183, v74, 0xb8d2, -v181
	v_add_f16_e32 v19, v20, v19
	v_mul_f16_e32 v20, 0xbbb2, v92
	v_fmamk_f16 v53, v68, 0x3836, v22
	v_mul_f16_e32 v184, 0x3b29, v93
	v_add_f16_e32 v111, v126, v111
	v_add_f16_e32 v15, v18, v19
	v_fmamk_f16 v18, v74, 0xb461, v20
	v_mul_f16_e32 v19, 0xba62, v93
	v_add_f16_e32 v14, v53, v16
	v_add_f16_e32 v121, v9, v121
	v_fmamk_f16 v126, v70, 0xb8d2, v122
	v_add_f16_e32 v15, v18, v15
	v_fmamk_f16 v16, v76, 0xb8d2, v19
	v_mul_f16_e32 v127, 0x31e1, v88
	v_add_f16_e32 v5, v6, v5
	v_add_f16_e32 v6, v33, v10
	;; [unrolled: 1-line block ×4, first 2 shown]
	v_mul_f16_e32 v16, 0xb1e1, v99
	v_fma_f16 v170, v76, 0x3722, -v184
	v_mul_f16_e32 v175, 0xbbb2, v95
	v_fmac_f16_e32 v116, 0x39e9, v78
	v_add_f16_e32 v11, v12, v15
	v_fmamk_f16 v12, v78, 0xbbdd, v16
	v_add_f16_e32 v121, v126, v121
	v_fmamk_f16 v126, v72, 0xbbdd, v127
	v_mul_f16_e32 v129, 0x3bb2, v90
	v_fma_f16 v15, v70, 0xb8d2, -v122
	v_add_f16_e32 v10, v12, v11
	v_fma_f16 v11, v69, 0x3722, -v113
	v_fmac_f16_e32 v130, 0xb964, v67
	v_add_f16_e32 v167, v170, v167
	v_fma_f16 v170, v77, 0xb461, -v175
	v_fmac_f16_e32 v177, 0x3b76, v70
	v_add_f16_e32 v11, v9, v11
	v_add_f16_e32 v109, v116, v109
	;; [unrolled: 1-line block ×3, first 2 shown]
	v_fmamk_f16 v121, v73, 0xb461, v129
	v_mul_f16_e32 v126, 0x3964, v92
	v_add_f16_e32 v5, v30, v5
	v_add_f16_e32 v11, v15, v11
	v_fma_f16 v15, v72, 0xbbdd, -v127
	v_add_f16_e32 v30, v48, v130
	v_fmac_f16_e32 v134, 0xbbf7, v66
	v_add_f16_e32 v166, v170, v167
	v_add_f16_e32 v170, v177, v172
	v_fmac_f16_e32 v180, 0xbacd, v72
	v_add_f16_e32 v116, v121, v116
	v_fmamk_f16 v121, v74, 0x39e9, v126
	v_mul_f16_e32 v131, 0xb5c8, v93
	v_add_f16_e32 v11, v15, v11
	v_fma_f16 v15, v73, 0xb461, -v129
	v_add_f16_e32 v30, v134, v30
	v_fmac_f16_e32 v137, 0xba62, v62
	v_add_f16_e32 v163, v165, v163
	v_fma_f16 v165, v82, 0x3722, -v174
	v_add_f16_e32 v170, v180, v170
	v_fmac_f16_e32 v176, 0x39e9, v73
	v_add_f16_e32 v116, v121, v116
	v_fmamk_f16 v121, v76, 0x3b76, v131
	v_mul_f16_e32 v135, 0xbbf7, v95
	v_mul_f16_e32 v138, 0xb964, v86
	v_add_f16_e32 v11, v15, v11
	v_fma_f16 v15, v74, 0x39e9, -v126
	v_add_f16_e32 v30, v137, v30
	v_fmac_f16_e32 v136, 0xb1e1, v63
	v_add_f16_e32 v163, v165, v163
	v_fma_f16 v165, v89, 0xb461, -v178
	v_add_f16_e32 v170, v176, v170
	v_fmac_f16_e32 v181, 0xb8d2, v74
	v_add_f16_e32 v116, v121, v116
	v_fmamk_f16 v121, v77, 0x2de8, v135
	v_fmamk_f16 v141, v69, 0x39e9, v138
	v_mul_f16_e32 v142, 0xbbf7, v87
	v_add_f16_e32 v11, v15, v11
	v_fma_f16 v15, v76, 0x3b76, -v131
	v_add_f16_e32 v30, v136, v30
	v_fmac_f16_e32 v139, 0x3836, v64
	v_add_f16_e32 v163, v165, v163
	v_add_f16_e32 v165, v181, v170
	v_fmac_f16_e32 v184, 0x3722, v76
	v_add_f16_e32 v116, v121, v116
	v_mul_f16_e32 v121, 0xb836, v99
	v_add_f16_e32 v141, v9, v141
	v_fmamk_f16 v144, v70, 0x2de8, v142
	v_mul_f16_e32 v145, 0xba62, v88
	v_add_f16_e32 v6, v32, v6
	v_add_f16_e32 v11, v15, v11
	v_fma_f16 v15, v77, 0x2de8, -v135
	v_add_f16_e32 v30, v139, v30
	v_fmac_f16_e32 v143, 0x3bb2, v65
	v_mul_f16_e32 v167, 0x3bf7, v99
	v_add_f16_e32 v154, v184, v165
	v_fmac_f16_e32 v175, 0xb461, v77
	v_fmamk_f16 v140, v78, 0xbacd, v121
	v_add_f16_e32 v141, v144, v141
	v_fmamk_f16 v144, v72, 0xb8d2, v145
	v_mul_f16_e32 v147, 0xb1e1, v90
	v_add_f16_e32 v6, v31, v6
	v_add_f16_e32 v11, v15, v11
	v_fma_f16 v15, v78, 0xbacd, -v121
	v_add_f16_e32 v30, v143, v30
	v_fmac_f16_e32 v146, 0x3b29, v68
	v_fma_f16 v31, v69, 0x39e9, -v138
	v_fmac_f16_e32 v110, 0xbb29, v67
	v_fmac_f16_e32 v98, 0xb5c8, v67
	v_fma_f16 v21, v69, 0x3b76, -v21
	v_fma_f16 v172, v78, 0x2de8, -v167
	v_add_f16_e32 v154, v175, v154
	v_fmac_f16_e32 v167, 0x2de8, v78
	v_add_f16_e32 v116, v140, v116
	v_add_f16_e32 v140, v144, v141
	v_fmamk_f16 v141, v73, 0xbbdd, v147
	v_mul_f16_e32 v144, 0x3836, v92
	v_add_f16_e32 v11, v15, v11
	v_add_f16_e32 v15, v146, v30
	;; [unrolled: 1-line block ×3, first 2 shown]
	v_fma_f16 v31, v70, 0x2de8, -v142
	v_add_f16_e32 v12, v48, v110
	v_fmac_f16_e32 v117, 0xba62, v66
	v_add_f16_e32 v32, v48, v98
	v_fmac_f16_e32 v97, 0xb964, v66
	v_add_f16_e32 v9, v9, v21
	v_fma_f16 v21, v70, 0x39e9, -v59
	v_add_f16_e32 v105, v167, v154
	v_fma_f16 v154, v91, 0xb461, -v161
	v_add_f16_e32 v140, v141, v140
	v_fmamk_f16 v141, v74, 0xbacd, v144
	v_mul_f16_e32 v148, 0x3bb2, v93
	v_add_f16_e32 v30, v31, v30
	v_fma_f16 v31, v72, 0xb8d2, -v145
	v_add_f16_e32 v12, v117, v12
	v_fmac_f16_e32 v115, 0x31e1, v62
	v_add_f16_e32 v32, v97, v32
	v_fmac_f16_e32 v96, 0xbb29, v62
	v_add_f16_e32 v9, v21, v9
	v_fma_f16 v21, v72, 0x3722, -v55
	v_add_f16_e32 v120, v154, v151
	v_add_f16_e32 v140, v141, v140
	v_fmamk_f16 v141, v76, 0xb461, v148
	v_mul_f16_e32 v151, 0x3b29, v95
	v_add_f16_e32 v30, v31, v30
	v_fma_f16 v31, v73, 0xbbdd, -v147
	v_add_f16_e32 v12, v115, v12
	v_fmac_f16_e32 v118, 0x3bb2, v63
	v_add_f16_e32 v32, v96, v32
	v_fmac_f16_e32 v85, 0xbbf7, v63
	v_add_f16_e32 v9, v21, v9
	v_fma_f16 v17, v73, 0x2de8, -v17
	v_add_f16_e32 v140, v141, v140
	v_fmamk_f16 v141, v77, 0x3722, v151
	v_add_f16_e32 v30, v31, v30
	v_fma_f16 v31, v74, 0xbacd, -v144
	v_add_f16_e32 v12, v118, v12
	v_fmac_f16_e32 v119, 0x3964, v64
	v_add_f16_e32 v32, v85, v32
	v_fmac_f16_e32 v83, 0xbbb2, v64
	v_add_f16_e32 v9, v17, v9
	v_fma_f16 v17, v74, 0xb461, -v20
	v_mul_f16_e32 v18, 0xbbdd, v91
	v_add_f16_e32 v140, v141, v140
	v_mul_f16_e32 v141, 0x35c8, v99
	v_add_f16_e32 v21, v31, v30
	v_fma_f16 v30, v76, 0xb461, -v148
	v_add_f16_e32 v12, v119, v12
	v_fmac_f16_e32 v125, 0xb5c8, v65
	v_add_f16_e32 v31, v83, v32
	v_fmac_f16_e32 v57, 0xba62, v65
	v_add_f16_e32 v9, v17, v9
	v_fma_f16 v17, v76, 0xb8d2, -v19
	v_fmamk_f16 v50, v71, 0x31e1, v18
	v_fmamk_f16 v150, v78, 0x3b76, v141
	v_add_f16_e32 v20, v30, v21
	v_fma_f16 v21, v77, 0x3722, -v151
	v_add_f16_e32 v12, v125, v12
	v_fmac_f16_e32 v128, 0xbbf7, v68
	v_add_f16_e32 v30, v57, v31
	v_fmac_f16_e32 v22, 0xb836, v68
	v_add_f16_e32 v9, v17, v9
	v_fma_f16 v13, v77, 0xbacd, -v13
	v_add_f16_e32 v103, v172, v166
	v_fma_f16 v166, v91, 0x2de8, -v179
	v_add_f16_e32 v14, v50, v14
	v_and_b32_e32 v17, 0xffff, v29
	v_add_f16_e32 v61, v150, v140
	v_add_f16_e32 v19, v21, v20
	v_fma_f16 v20, v78, 0x3b76, -v141
	v_add_f16_e32 v12, v128, v12
	v_fmac_f16_e32 v114, 0xb836, v71
	v_fmac_f16_e32 v133, 0x35c8, v71
	v_add_f16_e32 v21, v22, v30
	v_fmac_f16_e32 v18, 0xb1e1, v71
	v_add_f16_e32 v9, v13, v9
	v_fma_f16 v13, v78, 0xbbdd, -v16
	v_add_f16_e32 v104, v166, v163
	v_lshl_add_u32 v16, v17, 2, v28
	v_pack_b32_f16 v10, v10, v14
	v_pack_b32_f16 v5, v5, v6
	;; [unrolled: 1-line block ×4, first 2 shown]
	v_add_f16_e32 v19, v20, v19
	v_pack_b32_f16 v17, v111, v106
	v_pack_b32_f16 v20, v109, v108
	v_add_f16_e32 v12, v114, v12
	v_add_f16_e32 v15, v133, v15
	;; [unrolled: 1-line block ×3, first 2 shown]
	v_pack_b32_f16 v21, v123, v120
	v_pack_b32_f16 v22, v107, v124
	v_add_f16_e32 v9, v13, v9
	ds_write2_b32 v16, v5, v10 offset1:1
	ds_write2_b32 v16, v14, v6 offset0:2 offset1:3
	ds_write2_b32 v16, v20, v17 offset0:4 offset1:5
	;; [unrolled: 1-line block ×3, first 2 shown]
	v_pack_b32_f16 v5, v103, v102
	v_pack_b32_f16 v6, v105, v104
	;; [unrolled: 1-line block ×9, first 2 shown]
	ds_write2_b32 v16, v6, v5 offset0:8 offset1:9
	ds_write2_b32 v16, v13, v10 offset0:10 offset1:11
	;; [unrolled: 1-line block ×4, first 2 shown]
	ds_write_b32 v16, v9 offset:64
.LBB0_13:
	s_or_b32 exec_lo, exec_lo, s0
	s_waitcnt lgkmcnt(0)
	s_barrier
	buffer_gl0_inv
	ds_read2_b32 v[5:6], v34 offset0:34 offset1:51
	ds_read2_b32 v[9:10], v34 offset0:68 offset1:85
	;; [unrolled: 1-line block ×6, first 2 shown]
	ds_read2_b32 v[19:20], v34 offset1:17
	s_waitcnt lgkmcnt(0)
	s_barrier
	buffer_gl0_inv
	v_lshrrev_b32_e32 v21, 16, v5
	v_lshrrev_b32_e32 v22, 16, v9
	;; [unrolled: 1-line block ×5, first 2 shown]
	v_mul_f16_sdwa v51, v0, v5 dst_sel:DWORD dst_unused:UNUSED_PAD src0_sel:WORD_1 src1_sel:DWORD
	v_mul_f16_sdwa v52, v1, v9 dst_sel:DWORD dst_unused:UNUSED_PAD src0_sel:WORD_1 src1_sel:DWORD
	;; [unrolled: 1-line block ×4, first 2 shown]
	v_lshrrev_b32_e32 v31, 16, v17
	v_lshrrev_b32_e32 v32, 16, v6
	v_fma_f16 v21, v0, v21, -v51
	v_fma_f16 v22, v1, v22, -v52
	v_mul_f16_sdwa v51, v2, v28 dst_sel:DWORD dst_unused:UNUSED_PAD src0_sel:WORD_1 src1_sel:DWORD
	v_fmac_f16_e32 v54, v0, v5
	v_fmac_f16_e32 v55, v1, v9
	v_mul_f16_sdwa v5, v2, v11 dst_sel:DWORD dst_unused:UNUSED_PAD src0_sel:WORD_1 src1_sel:DWORD
	v_mul_f16_sdwa v9, v3, v29 dst_sel:DWORD dst_unused:UNUSED_PAD src0_sel:WORD_1 src1_sel:DWORD
	;; [unrolled: 1-line block ×4, first 2 shown]
	v_lshrrev_b32_e32 v33, 16, v10
	v_lshrrev_b32_e32 v48, 16, v12
	;; [unrolled: 1-line block ×3, first 2 shown]
	v_fmac_f16_e32 v51, v2, v11
	v_fma_f16 v5, v2, v28, -v5
	v_fmac_f16_e32 v9, v3, v13
	v_fma_f16 v11, v3, v29, -v52
	v_fmac_f16_e32 v56, v7, v15
	v_mul_f16_sdwa v13, v7, v15 dst_sel:DWORD dst_unused:UNUSED_PAD src0_sel:WORD_1 src1_sel:DWORD
	v_mul_f16_sdwa v15, v8, v31 dst_sel:DWORD dst_unused:UNUSED_PAD src0_sel:WORD_1 src1_sel:DWORD
	;; [unrolled: 1-line block ×5, first 2 shown]
	v_lshrrev_b32_e32 v50, 16, v16
	v_lshrrev_b32_e32 v53, 16, v18
	v_fma_f16 v13, v7, v30, -v13
	v_fmac_f16_e32 v15, v8, v17
	v_fma_f16 v17, v8, v31, -v28
	v_fmac_f16_e32 v29, v0, v6
	v_fma_f16 v0, v0, v32, -v52
	v_mul_f16_sdwa v6, v1, v33 dst_sel:DWORD dst_unused:UNUSED_PAD src0_sel:WORD_1 src1_sel:DWORD
	v_mul_f16_sdwa v28, v1, v10 dst_sel:DWORD dst_unused:UNUSED_PAD src0_sel:WORD_1 src1_sel:DWORD
	;; [unrolled: 1-line block ×5, first 2 shown]
	v_fmac_f16_e32 v6, v1, v10
	v_fma_f16 v1, v1, v33, -v28
	v_fmac_f16_e32 v30, v2, v12
	v_fmac_f16_e32 v32, v3, v14
	v_mul_f16_sdwa v10, v3, v14 dst_sel:DWORD dst_unused:UNUSED_PAD src0_sel:WORD_1 src1_sel:DWORD
	v_mul_f16_sdwa v12, v7, v50 dst_sel:DWORD dst_unused:UNUSED_PAD src0_sel:WORD_1 src1_sel:DWORD
	;; [unrolled: 1-line block ×4, first 2 shown]
	v_fma_f16 v2, v2, v48, -v31
	v_mul_f16_sdwa v31, v8, v18 dst_sel:DWORD dst_unused:UNUSED_PAD src0_sel:WORD_1 src1_sel:DWORD
	v_fma_f16 v3, v3, v49, -v10
	v_fmac_f16_e32 v12, v7, v16
	v_fma_f16 v7, v7, v50, -v14
	v_fmac_f16_e32 v28, v8, v18
	v_add_f16_e32 v10, v54, v15
	v_add_f16_e32 v14, v21, v17
	v_sub_f16_e32 v16, v21, v17
	v_add_f16_e32 v17, v55, v56
	v_add_f16_e32 v18, v22, v13
	v_fma_f16 v8, v8, v53, -v31
	v_sub_f16_e32 v15, v54, v15
	v_sub_f16_e32 v21, v55, v56
	;; [unrolled: 1-line block ×3, first 2 shown]
	v_add_f16_e32 v22, v51, v9
	v_add_f16_e32 v31, v5, v11
	v_sub_f16_e32 v9, v9, v51
	v_sub_f16_e32 v5, v11, v5
	v_add_f16_e32 v11, v17, v10
	v_add_f16_e32 v33, v18, v14
	v_sub_f16_e32 v48, v17, v10
	v_sub_f16_e32 v49, v18, v14
	;; [unrolled: 1-line block ×6, first 2 shown]
	v_add_f16_e32 v50, v9, v21
	v_add_f16_e32 v51, v5, v13
	v_sub_f16_e32 v52, v9, v21
	v_sub_f16_e32 v53, v5, v13
	;; [unrolled: 1-line block ×3, first 2 shown]
	v_add_f16_e32 v11, v22, v11
	v_add_f16_e32 v22, v31, v33
	v_sub_f16_e32 v13, v13, v16
	v_sub_f16_e32 v9, v15, v9
	;; [unrolled: 1-line block ×3, first 2 shown]
	v_add_f16_e32 v15, v50, v15
	v_add_f16_e32 v16, v51, v16
	;; [unrolled: 1-line block ×3, first 2 shown]
	v_add_f16_sdwa v19, v19, v22 dst_sel:DWORD dst_unused:UNUSED_PAD src0_sel:WORD_1 src1_sel:DWORD
	v_mul_f16_e32 v10, 0x3a52, v10
	v_mul_f16_e32 v14, 0x3a52, v14
	;; [unrolled: 1-line block ×8, first 2 shown]
	v_fmamk_f16 v11, v11, 0xbcab, v31
	v_fmamk_f16 v22, v22, 0xbcab, v19
	;; [unrolled: 1-line block ×4, first 2 shown]
	v_fma_f16 v33, v48, 0x39e0, -v33
	v_fma_f16 v50, v49, 0x39e0, -v50
	;; [unrolled: 1-line block ×4, first 2 shown]
	v_fmamk_f16 v48, v9, 0xb574, v51
	v_fmamk_f16 v49, v5, 0xb574, v52
	v_fma_f16 v9, v9, 0x3574, -v53
	v_fma_f16 v5, v5, 0x3574, -v54
	;; [unrolled: 1-line block ×4, first 2 shown]
	v_add_f16_e32 v17, v17, v11
	v_add_f16_e32 v18, v18, v22
	;; [unrolled: 1-line block ×5, first 2 shown]
	v_fmac_f16_e32 v48, 0xb70e, v15
	v_fmac_f16_e32 v49, 0xb70e, v16
	;; [unrolled: 1-line block ×4, first 2 shown]
	v_add_f16_e32 v50, v50, v22
	v_fmac_f16_e32 v21, 0xb70e, v15
	v_fmac_f16_e32 v13, 0xb70e, v16
	v_add_f16_e32 v14, v49, v17
	v_sub_f16_e32 v15, v18, v48
	v_add_f16_e32 v16, v5, v10
	v_sub_f16_e32 v22, v11, v9
	v_sub_f16_e32 v5, v10, v5
	v_add_f16_e32 v9, v9, v11
	v_sub_f16_e32 v10, v17, v49
	v_add_f16_e32 v11, v48, v18
	v_add_f16_e32 v17, v29, v28
	;; [unrolled: 1-line block ×3, first 2 shown]
	v_sub_f16_e32 v28, v29, v28
	v_sub_f16_e32 v0, v0, v8
	v_add_f16_e32 v8, v6, v12
	v_add_f16_e32 v29, v1, v7
	v_sub_f16_e32 v6, v6, v12
	v_sub_f16_e32 v1, v1, v7
	v_add_f16_e32 v7, v30, v32
	v_add_f16_e32 v12, v2, v3
	;; [unrolled: 4-line block ×3, first 2 shown]
	v_sub_f16_e32 v51, v33, v13
	v_add_f16_e32 v52, v21, v50
	v_add_f16_e32 v13, v13, v33
	v_sub_f16_e32 v21, v50, v21
	v_sub_f16_e32 v33, v8, v17
	;; [unrolled: 1-line block ×7, first 2 shown]
	v_add_f16_e32 v49, v30, v6
	v_add_f16_e32 v50, v2, v1
	v_sub_f16_e32 v53, v30, v6
	v_sub_f16_e32 v54, v2, v1
	;; [unrolled: 1-line block ×3, first 2 shown]
	v_add_f16_e32 v3, v7, v3
	v_add_f16_e32 v7, v12, v32
	v_sub_f16_e32 v1, v1, v0
	v_sub_f16_e32 v30, v28, v30
	;; [unrolled: 1-line block ×3, first 2 shown]
	v_add_f16_e32 v12, v49, v28
	v_add_f16_e32 v0, v50, v0
	;; [unrolled: 1-line block ×3, first 2 shown]
	v_add_f16_sdwa v20, v20, v7 dst_sel:DWORD dst_unused:UNUSED_PAD src0_sel:WORD_1 src1_sel:DWORD
	v_mul_f16_e32 v17, 0x3a52, v17
	v_mul_f16_e32 v18, 0x3a52, v18
	;; [unrolled: 1-line block ×8, first 2 shown]
	v_fmamk_f16 v3, v3, 0xbcab, v28
	v_fmamk_f16 v7, v7, 0xbcab, v20
	;; [unrolled: 1-line block ×4, first 2 shown]
	v_fma_f16 v32, v33, 0x39e0, -v32
	v_fma_f16 v49, v48, 0x39e0, -v49
	v_fma_f16 v17, v33, 0xb9e0, -v17
	v_fma_f16 v18, v48, 0xb9e0, -v18
	v_fmamk_f16 v33, v30, 0xb574, v50
	v_fmamk_f16 v48, v2, 0xb574, v53
	v_fma_f16 v30, v30, 0x3574, -v54
	v_fma_f16 v2, v2, 0x3574, -v55
	;; [unrolled: 1-line block ×4, first 2 shown]
	v_add_f16_e32 v8, v8, v3
	v_add_f16_e32 v29, v29, v7
	v_add_f16_e32 v32, v32, v3
	v_add_f16_e32 v49, v49, v7
	v_add_f16_e32 v3, v17, v3
	v_add_f16_e32 v7, v18, v7
	v_fmac_f16_e32 v33, 0xb70e, v12
	v_fmac_f16_e32 v48, 0xb70e, v0
	;; [unrolled: 1-line block ×6, first 2 shown]
	v_add_f16_e32 v0, v48, v8
	v_sub_f16_e32 v12, v29, v33
	v_add_f16_e32 v17, v2, v3
	v_sub_f16_e32 v18, v7, v30
	v_sub_f16_e32 v50, v32, v1
	v_add_f16_e32 v53, v6, v49
	v_add_f16_e32 v1, v1, v32
	v_sub_f16_e32 v6, v49, v6
	v_sub_f16_e32 v2, v3, v2
	v_add_f16_e32 v3, v30, v7
	v_sub_f16_e32 v7, v8, v48
	v_add_f16_e32 v8, v33, v29
	v_pack_b32_f16 v19, v31, v19
	v_pack_b32_f16 v14, v14, v15
	;; [unrolled: 1-line block ×14, first 2 shown]
	ds_write2_b32 v34, v19, v14 offset1:17
	ds_write2_b32 v34, v15, v16 offset0:34 offset1:51
	ds_write2_b32 v34, v13, v5 offset0:68 offset1:85
	;; [unrolled: 1-line block ×6, first 2 shown]
	s_waitcnt lgkmcnt(0)
	s_barrier
	buffer_gl0_inv
	ds_read2_b32 v[0:1], v34 offset1:17
	ds_read2_b32 v[2:3], v34 offset0:102 offset1:119
	ds_read2_b32 v[5:6], v34 offset0:136 offset1:153
	;; [unrolled: 1-line block ×6, first 2 shown]
	s_waitcnt lgkmcnt(6)
	v_lshrrev_b32_e32 v15, 16, v0
	s_waitcnt lgkmcnt(5)
	v_lshrrev_b32_e32 v16, 16, v3
	;; [unrolled: 2-line block ×3, first 2 shown]
	v_lshrrev_b32_e32 v20, 16, v6
	s_waitcnt lgkmcnt(2)
	v_lshrrev_b32_e32 v22, 16, v9
	v_lshrrev_b32_e32 v29, 16, v10
	v_mul_f16_sdwa v33, v40, v16 dst_sel:DWORD dst_unused:UNUSED_PAD src0_sel:WORD_1 src1_sel:DWORD
	v_mul_f16_sdwa v48, v40, v3 dst_sel:DWORD dst_unused:UNUSED_PAD src0_sel:WORD_1 src1_sel:DWORD
	;; [unrolled: 1-line block ×4, first 2 shown]
	s_waitcnt lgkmcnt(0)
	v_lshrrev_b32_e32 v31, 16, v13
	v_fmac_f16_e32 v33, v40, v3
	v_mul_f16_sdwa v3, v37, v20 dst_sel:DWORD dst_unused:UNUSED_PAD src0_sel:WORD_1 src1_sel:DWORD
	v_fma_f16 v16, v40, v16, -v48
	v_fmac_f16_e32 v49, v42, v5
	v_fma_f16 v5, v42, v18, -v50
	v_mul_f16_sdwa v18, v37, v6 dst_sel:DWORD dst_unused:UNUSED_PAD src0_sel:WORD_1 src1_sel:DWORD
	v_fmac_f16_e32 v3, v37, v6
	v_mul_f16_sdwa v6, v38, v22 dst_sel:DWORD dst_unused:UNUSED_PAD src0_sel:WORD_1 src1_sel:DWORD
	v_mul_f16_sdwa v40, v38, v9 dst_sel:DWORD dst_unused:UNUSED_PAD src0_sel:WORD_1 src1_sel:DWORD
	;; [unrolled: 1-line block ×3, first 2 shown]
	v_lshrrev_b32_e32 v17, 16, v1
	v_fma_f16 v18, v37, v20, -v18
	v_mul_f16_sdwa v20, v41, v10 dst_sel:DWORD dst_unused:UNUSED_PAD src0_sel:WORD_1 src1_sel:DWORD
	v_fmac_f16_e32 v6, v38, v9
	v_fma_f16 v9, v38, v22, -v40
	v_fmac_f16_e32 v42, v41, v10
	v_mul_f16_sdwa v10, v36, v31 dst_sel:DWORD dst_unused:UNUSED_PAD src0_sel:WORD_1 src1_sel:DWORD
	v_mul_f16_sdwa v22, v36, v13 dst_sel:DWORD dst_unused:UNUSED_PAD src0_sel:WORD_1 src1_sel:DWORD
	v_lshrrev_b32_e32 v34, 16, v14
	v_lshrrev_b32_e32 v19, 16, v7
	v_sub_f16_e32 v16, v15, v16
	v_fmac_f16_e32 v10, v36, v13
	v_sub_f16_e32 v13, v0, v33
	v_fma_f16 v22, v36, v31, -v22
	v_sub_f16_e32 v31, v1, v49
	v_sub_f16_e32 v5, v17, v5
	v_lshrrev_b32_e32 v21, 16, v8
	v_fma_f16 v20, v41, v29, -v20
	v_mul_f16_sdwa v29, v39, v34 dst_sel:DWORD dst_unused:UNUSED_PAD src0_sel:WORD_1 src1_sel:DWORD
	v_mul_f16_sdwa v37, v39, v14 dst_sel:DWORD dst_unused:UNUSED_PAD src0_sel:WORD_1 src1_sel:DWORD
	v_lshrrev_b32_e32 v28, 16, v11
	v_fma_f16 v0, v0, 2.0, -v13
	v_sub_f16_e32 v3, v7, v3
	v_fma_f16 v15, v15, 2.0, -v16
	v_sub_f16_e32 v18, v19, v18
	v_fma_f16 v1, v1, 2.0, -v31
	v_fma_f16 v17, v17, 2.0, -v5
	v_lshrrev_b32_e32 v30, 16, v12
	v_sub_f16_e32 v6, v8, v6
	v_sub_f16_e32 v9, v21, v9
	v_lshrrev_b32_e32 v32, 16, v2
	v_fmac_f16_e32 v29, v39, v14
	v_fma_f16 v14, v39, v34, -v37
	v_sub_f16_e32 v33, v11, v42
	v_sub_f16_e32 v20, v28, v20
	v_fma_f16 v7, v7, 2.0, -v3
	v_fma_f16 v19, v19, 2.0, -v18
	v_pack_b32_f16 v0, v0, v15
	v_pack_b32_f16 v1, v1, v17
	v_sub_f16_e32 v10, v12, v10
	v_sub_f16_e32 v22, v30, v22
	v_pack_b32_f16 v13, v13, v16
	v_pack_b32_f16 v5, v31, v5
	v_fma_f16 v8, v8, 2.0, -v6
	v_fma_f16 v21, v21, 2.0, -v9
	v_sub_f16_e32 v29, v2, v29
	v_sub_f16_e32 v14, v32, v14
	v_fma_f16 v11, v11, 2.0, -v33
	v_fma_f16 v28, v28, 2.0, -v20
	ds_write2_b32 v35, v0, v1 offset1:17
	ds_write2_b32 v35, v13, v5 offset0:119 offset1:136
	v_pack_b32_f16 v0, v7, v19
	v_fma_f16 v12, v12, 2.0, -v10
	v_fma_f16 v15, v30, 2.0, -v22
	v_pack_b32_f16 v1, v3, v18
	v_pack_b32_f16 v3, v8, v21
	v_fma_f16 v2, v2, 2.0, -v29
	v_fma_f16 v16, v32, 2.0, -v14
	v_pack_b32_f16 v5, v6, v9
	v_pack_b32_f16 v6, v11, v28
	ds_write_b32 v35, v0 offset:136
	ds_write_b32 v47, v1 offset:476
	;; [unrolled: 1-line block ×5, first 2 shown]
	v_pack_b32_f16 v0, v33, v20
	v_pack_b32_f16 v1, v12, v15
	v_pack_b32_f16 v3, v10, v22
	v_pack_b32_f16 v2, v2, v16
	v_pack_b32_f16 v5, v29, v14
	ds_write_b32 v45, v0 offset:476
	ds_write_b32 v35, v1 offset:340
	ds_write_b32 v44, v3 offset:476
	ds_write_b32 v35, v2 offset:408
	ds_write_b32 v43, v5 offset:476
	s_waitcnt lgkmcnt(0)
	s_barrier
	buffer_gl0_inv
	s_and_b32 exec_lo, exec_lo, vcc_lo
	s_cbranch_execz .LBB0_15
; %bb.14:
	global_load_dword v0, v24, s[12:13]
	ds_read_b32 v1, v35
	s_mov_b32 s8, 0x1135c811
	s_mov_b32 s9, 0x3f7135c8
	v_mad_u64_u32 v[7:8], null, s4, v27, 0
	s_mul_hi_u32 s3, s4, 56
	s_waitcnt lgkmcnt(0)
	v_lshrrev_b32_e32 v2, 16, v1
	s_waitcnt vmcnt(0)
	v_mul_f16_sdwa v3, v2, v0 dst_sel:DWORD dst_unused:UNUSED_PAD src0_sel:DWORD src1_sel:WORD_1
	v_mul_f16_sdwa v5, v1, v0 dst_sel:DWORD dst_unused:UNUSED_PAD src0_sel:DWORD src1_sel:WORD_1
	v_fmac_f16_e32 v3, v1, v0
	v_fma_f16 v0, v0, v2, -v5
	v_mad_u64_u32 v[5:6], null, s6, v4, 0
	s_mul_i32 s6, s4, 56
	v_cvt_f32_f16_e32 v1, v3
	v_cvt_f32_f16_e32 v2, v0
	v_cvt_f64_f32_e32 v[0:1], v1
	v_cvt_f64_f32_e32 v[2:3], v2
	v_mul_f64 v[0:1], v[0:1], s[8:9]
	v_mul_f64 v[2:3], v[2:3], s[8:9]
	v_and_or_b32 v0, 0x1ff, v1, v0
	v_and_or_b32 v2, 0x1ff, v3, v2
	v_lshrrev_b32_e32 v9, 8, v1
	v_bfe_u32 v11, v1, 20, 11
	v_bfe_u32 v12, v3, 20, 11
	v_cmp_ne_u32_e32 vcc_lo, 0, v0
	v_lshrrev_b32_e32 v10, 8, v3
	v_mov_b32_e32 v0, v8
	v_sub_nc_u32_e32 v14, 0x3f1, v11
	v_sub_nc_u32_e32 v15, 0x3f1, v12
	v_cndmask_b32_e64 v13, 0, 1, vcc_lo
	v_cmp_ne_u32_e32 vcc_lo, 0, v2
	v_add_nc_u32_e32 v11, 0xfffffc10, v11
	v_add_nc_u32_e32 v12, 0xfffffc10, v12
	v_lshrrev_b32_e32 v3, 16, v3
	v_and_or_b32 v13, 0xffe, v9, v13
	v_cndmask_b32_e64 v2, 0, 1, vcc_lo
	v_mad_u64_u32 v[8:9], null, s7, v4, v[6:7]
	v_med3_i32 v4, v14, 0, 13
	v_med3_i32 v14, v15, 0, 13
	v_and_or_b32 v2, 0xffe, v10, v2
	v_or_b32_e32 v15, 0x1000, v13
	v_mad_u64_u32 v[9:10], null, s5, v27, v[0:1]
	v_mov_b32_e32 v6, v8
	v_or_b32_e32 v16, 0x1000, v2
	v_lshrrev_b32_e32 v0, v4, v15
	v_lshrrev_b32_e32 v1, 16, v1
	v_mov_b32_e32 v8, v9
	v_lshrrev_b32_e32 v10, v14, v16
	v_lshlrev_b32_e32 v4, v4, v0
	v_lshlrev_b32_e32 v9, v14, v10
	v_cmp_ne_u32_e32 vcc_lo, v4, v15
	v_lshlrev_b64 v[4:5], 2, v[5:6]
	v_lshl_or_b32 v6, v11, 12, v13
	v_cndmask_b32_e64 v14, 0, 1, vcc_lo
	v_cmp_ne_u32_e32 vcc_lo, v9, v16
	v_or_b32_e32 v0, v0, v14
	v_cndmask_b32_e64 v9, 0, 1, vcc_lo
	v_cmp_gt_i32_e32 vcc_lo, 1, v11
	v_lshl_or_b32 v14, v12, 12, v2
	v_or_b32_e32 v9, v10, v9
	v_cndmask_b32_e32 v0, v6, v0, vcc_lo
	v_cmp_gt_i32_e32 vcc_lo, 1, v12
	v_and_b32_e32 v10, 7, v0
	v_cndmask_b32_e32 v6, v14, v9, vcc_lo
	v_cmp_ne_u32_e32 vcc_lo, 0, v13
	v_lshrrev_b32_e32 v0, 2, v0
	v_cmp_eq_u32_e64 s0, 3, v10
	v_and_b32_e32 v13, 7, v6
	v_cndmask_b32_e64 v9, 0, 1, vcc_lo
	v_cmp_ne_u32_e32 vcc_lo, 0, v2
	v_lshrrev_b32_e32 v6, 2, v6
	v_cmp_lt_i32_e64 s1, 5, v13
	v_cmp_eq_u32_e64 s2, 3, v13
	v_cndmask_b32_e64 v2, 0, 1, vcc_lo
	v_cmp_lt_i32_e32 vcc_lo, 5, v10
	v_lshl_or_b32 v9, v9, 9, 0x7c00
	v_lshl_or_b32 v2, v2, 9, 0x7c00
	s_or_b32 vcc_lo, s0, vcc_lo
	v_add_co_ci_u32_e32 v0, vcc_lo, 0, v0, vcc_lo
	s_or_b32 vcc_lo, s2, s1
	v_add_co_ci_u32_e32 v6, vcc_lo, 0, v6, vcc_lo
	v_cmp_gt_i32_e32 vcc_lo, 31, v11
	v_cndmask_b32_e32 v0, 0x7c00, v0, vcc_lo
	v_cmp_gt_i32_e32 vcc_lo, 31, v12
	v_cndmask_b32_e32 v10, 0x7c00, v6, vcc_lo
	v_cmp_eq_u32_e32 vcc_lo, 0x40f, v11
	v_lshlrev_b64 v[6:7], 2, v[7:8]
	v_cndmask_b32_e32 v0, v0, v9, vcc_lo
	v_cmp_eq_u32_e32 vcc_lo, 0x40f, v12
	v_and_or_b32 v8, 0x8000, v1, v0
	v_cndmask_b32_e32 v2, v10, v2, vcc_lo
	v_add_co_u32 v0, vcc_lo, s14, v4
	v_add_co_ci_u32_e32 v1, vcc_lo, s15, v5, vcc_lo
	v_and_or_b32 v2, 0x8000, v3, v2
	v_and_b32_e32 v5, 0xffff, v8
	v_add_co_u32 v3, vcc_lo, v0, v6
	v_add_co_ci_u32_e32 v4, vcc_lo, v1, v7, vcc_lo
	v_lshl_or_b32 v2, v2, 16, v5
	global_store_dword v[3:4], v2, off
	global_load_dword v7, v24, s[12:13] offset:56
	v_lshl_add_u32 v2, v26, 2, v24
	ds_read2_b32 v[5:6], v2 offset0:14 offset1:28
	s_waitcnt lgkmcnt(0)
	v_lshrrev_b32_e32 v8, 16, v5
	s_waitcnt vmcnt(0)
	v_mul_f16_sdwa v9, v8, v7 dst_sel:DWORD dst_unused:UNUSED_PAD src0_sel:DWORD src1_sel:WORD_1
	v_mul_f16_sdwa v10, v5, v7 dst_sel:DWORD dst_unused:UNUSED_PAD src0_sel:DWORD src1_sel:WORD_1
	v_fmac_f16_e32 v9, v5, v7
	v_fma_f16 v5, v7, v8, -v10
	v_cvt_f32_f16_e32 v7, v9
	v_cvt_f32_f16_e32 v5, v5
	v_cvt_f64_f32_e32 v[7:8], v7
	v_cvt_f64_f32_e32 v[9:10], v5
	v_mul_f64 v[7:8], v[7:8], s[8:9]
	v_mul_f64 v[9:10], v[9:10], s[8:9]
	v_and_or_b32 v5, 0x1ff, v8, v7
	v_and_or_b32 v9, 0x1ff, v10, v9
	v_lshrrev_b32_e32 v7, 8, v8
	v_bfe_u32 v11, v8, 20, 11
	v_lshrrev_b32_e32 v12, 8, v10
	v_cmp_ne_u32_e32 vcc_lo, 0, v5
	v_bfe_u32 v13, v10, 20, 11
	v_lshrrev_b32_e32 v8, 16, v8
	v_sub_nc_u32_e32 v14, 0x3f1, v11
	v_add_nc_u32_e32 v11, 0xfffffc10, v11
	v_cndmask_b32_e64 v5, 0, 1, vcc_lo
	v_cmp_ne_u32_e32 vcc_lo, 0, v9
	v_lshrrev_b32_e32 v10, 16, v10
	v_and_or_b32 v5, 0xffe, v7, v5
	v_cndmask_b32_e64 v9, 0, 1, vcc_lo
	v_sub_nc_u32_e32 v7, 0x3f1, v13
	v_add_nc_u32_e32 v13, 0xfffffc10, v13
	v_and_or_b32 v9, 0xffe, v12, v9
	v_med3_i32 v12, v14, 0, 13
	v_or_b32_e32 v14, 0x1000, v5
	v_med3_i32 v7, v7, 0, 13
	v_or_b32_e32 v15, 0x1000, v9
	v_lshrrev_b32_e32 v16, v12, v14
	v_lshrrev_b32_e32 v17, v7, v15
	v_lshlrev_b32_e32 v12, v12, v16
	v_lshlrev_b32_e32 v7, v7, v17
	v_cmp_ne_u32_e32 vcc_lo, v12, v14
	v_lshl_or_b32 v14, v11, 12, v5
	v_cndmask_b32_e64 v12, 0, 1, vcc_lo
	v_cmp_ne_u32_e32 vcc_lo, v7, v15
	v_lshl_or_b32 v15, v13, 12, v9
	v_or_b32_e32 v12, v16, v12
	v_cndmask_b32_e64 v7, 0, 1, vcc_lo
	v_cmp_gt_i32_e32 vcc_lo, 1, v11
	v_or_b32_e32 v7, v17, v7
	v_cndmask_b32_e32 v12, v14, v12, vcc_lo
	v_cmp_gt_i32_e32 vcc_lo, 1, v13
	v_and_b32_e32 v14, 7, v12
	v_cndmask_b32_e32 v7, v15, v7, vcc_lo
	v_cmp_ne_u32_e32 vcc_lo, 0, v5
	v_lshrrev_b32_e32 v12, 2, v12
	v_cmp_eq_u32_e64 s0, 3, v14
	v_and_b32_e32 v15, 7, v7
	v_cndmask_b32_e64 v5, 0, 1, vcc_lo
	v_cmp_ne_u32_e32 vcc_lo, 0, v9
	v_lshrrev_b32_e32 v7, 2, v7
	v_cmp_lt_i32_e64 s1, 5, v15
	v_cmp_eq_u32_e64 s2, 3, v15
	v_cndmask_b32_e64 v9, 0, 1, vcc_lo
	v_cmp_lt_i32_e32 vcc_lo, 5, v14
	v_lshl_or_b32 v5, v5, 9, 0x7c00
	v_lshl_or_b32 v9, v9, 9, 0x7c00
	s_or_b32 vcc_lo, s0, vcc_lo
	s_mul_i32 s0, s5, 56
	v_add_co_ci_u32_e32 v12, vcc_lo, 0, v12, vcc_lo
	s_or_b32 vcc_lo, s2, s1
	s_add_i32 s3, s3, s0
	v_add_co_ci_u32_e32 v7, vcc_lo, 0, v7, vcc_lo
	v_cmp_gt_i32_e32 vcc_lo, 31, v11
	v_cndmask_b32_e32 v12, 0x7c00, v12, vcc_lo
	v_cmp_gt_i32_e32 vcc_lo, 31, v13
	v_cndmask_b32_e32 v7, 0x7c00, v7, vcc_lo
	v_cmp_eq_u32_e32 vcc_lo, 0x40f, v11
	v_cndmask_b32_e32 v5, v12, v5, vcc_lo
	v_cmp_eq_u32_e32 vcc_lo, 0x40f, v13
	v_and_or_b32 v5, 0x8000, v8, v5
	v_cndmask_b32_e32 v7, v7, v9, vcc_lo
	v_add_co_u32 v3, vcc_lo, v3, s6
	v_add_co_ci_u32_e32 v4, vcc_lo, s3, v4, vcc_lo
	v_and_or_b32 v7, 0x8000, v10, v7
	v_and_b32_e32 v5, 0xffff, v5
	v_lshl_or_b32 v5, v7, 16, v5
	v_lshrrev_b32_e32 v7, 16, v6
	global_store_dword v[3:4], v5, off
	global_load_dword v5, v24, s[12:13] offset:112
	s_waitcnt vmcnt(0)
	v_mul_f16_sdwa v8, v7, v5 dst_sel:DWORD dst_unused:UNUSED_PAD src0_sel:DWORD src1_sel:WORD_1
	v_mul_f16_sdwa v9, v6, v5 dst_sel:DWORD dst_unused:UNUSED_PAD src0_sel:DWORD src1_sel:WORD_1
	v_fmac_f16_e32 v8, v6, v5
	v_fma_f16 v5, v5, v7, -v9
	v_cvt_f32_f16_e32 v6, v8
	v_cvt_f32_f16_e32 v7, v5
	v_cvt_f64_f32_e32 v[5:6], v6
	v_cvt_f64_f32_e32 v[7:8], v7
	v_mul_f64 v[5:6], v[5:6], s[8:9]
	v_mul_f64 v[7:8], v[7:8], s[8:9]
	v_and_or_b32 v5, 0x1ff, v6, v5
	v_and_or_b32 v7, 0x1ff, v8, v7
	v_lshrrev_b32_e32 v9, 8, v6
	v_bfe_u32 v10, v6, 20, 11
	v_lshrrev_b32_e32 v11, 8, v8
	v_cmp_ne_u32_e32 vcc_lo, 0, v5
	v_bfe_u32 v12, v8, 20, 11
	v_lshrrev_b32_e32 v6, 16, v6
	v_sub_nc_u32_e32 v13, 0x3f1, v10
	v_add_nc_u32_e32 v10, 0xfffffc10, v10
	v_cndmask_b32_e64 v5, 0, 1, vcc_lo
	v_cmp_ne_u32_e32 vcc_lo, 0, v7
	v_lshrrev_b32_e32 v8, 16, v8
	v_and_or_b32 v5, 0xffe, v9, v5
	v_cndmask_b32_e64 v7, 0, 1, vcc_lo
	v_sub_nc_u32_e32 v9, 0x3f1, v12
	v_add_nc_u32_e32 v12, 0xfffffc10, v12
	v_and_or_b32 v7, 0xffe, v11, v7
	v_med3_i32 v11, v13, 0, 13
	v_or_b32_e32 v13, 0x1000, v5
	v_med3_i32 v9, v9, 0, 13
	v_or_b32_e32 v14, 0x1000, v7
	v_lshrrev_b32_e32 v15, v11, v13
	v_lshrrev_b32_e32 v16, v9, v14
	v_lshlrev_b32_e32 v11, v11, v15
	v_lshlrev_b32_e32 v9, v9, v16
	v_cmp_ne_u32_e32 vcc_lo, v11, v13
	v_lshl_or_b32 v13, v10, 12, v5
	v_cndmask_b32_e64 v11, 0, 1, vcc_lo
	v_cmp_ne_u32_e32 vcc_lo, v9, v14
	v_lshl_or_b32 v14, v12, 12, v7
	v_or_b32_e32 v11, v15, v11
	v_cndmask_b32_e64 v9, 0, 1, vcc_lo
	v_cmp_gt_i32_e32 vcc_lo, 1, v10
	v_or_b32_e32 v9, v16, v9
	v_cndmask_b32_e32 v11, v13, v11, vcc_lo
	v_cmp_gt_i32_e32 vcc_lo, 1, v12
	v_and_b32_e32 v13, 7, v11
	v_cndmask_b32_e32 v9, v14, v9, vcc_lo
	v_cmp_ne_u32_e32 vcc_lo, 0, v5
	v_lshrrev_b32_e32 v11, 2, v11
	v_cmp_eq_u32_e64 s0, 3, v13
	v_and_b32_e32 v14, 7, v9
	v_cndmask_b32_e64 v5, 0, 1, vcc_lo
	v_cmp_ne_u32_e32 vcc_lo, 0, v7
	v_lshrrev_b32_e32 v9, 2, v9
	v_cmp_lt_i32_e64 s1, 5, v14
	v_cmp_eq_u32_e64 s2, 3, v14
	v_cndmask_b32_e64 v7, 0, 1, vcc_lo
	v_cmp_lt_i32_e32 vcc_lo, 5, v13
	v_lshl_or_b32 v5, v5, 9, 0x7c00
	v_lshl_or_b32 v7, v7, 9, 0x7c00
	s_or_b32 vcc_lo, s0, vcc_lo
	v_add_co_ci_u32_e32 v11, vcc_lo, 0, v11, vcc_lo
	s_or_b32 vcc_lo, s2, s1
	v_add_co_ci_u32_e32 v9, vcc_lo, 0, v9, vcc_lo
	v_cmp_gt_i32_e32 vcc_lo, 31, v10
	v_cndmask_b32_e32 v11, 0x7c00, v11, vcc_lo
	v_cmp_gt_i32_e32 vcc_lo, 31, v12
	v_cndmask_b32_e32 v9, 0x7c00, v9, vcc_lo
	v_cmp_eq_u32_e32 vcc_lo, 0x40f, v10
	v_cndmask_b32_e32 v5, v11, v5, vcc_lo
	v_cmp_eq_u32_e32 vcc_lo, 0x40f, v12
	v_and_or_b32 v5, 0x8000, v6, v5
	v_cndmask_b32_e32 v7, v9, v7, vcc_lo
	v_add_co_u32 v3, vcc_lo, v3, s6
	v_add_co_ci_u32_e32 v4, vcc_lo, s3, v4, vcc_lo
	v_and_or_b32 v6, 0x8000, v8, v7
	v_and_b32_e32 v5, 0xffff, v5
	v_lshl_or_b32 v5, v6, 16, v5
	global_store_dword v[3:4], v5, off
	global_load_dword v7, v24, s[12:13] offset:168
	ds_read2_b32 v[5:6], v2 offset0:42 offset1:56
	s_waitcnt lgkmcnt(0)
	v_lshrrev_b32_e32 v8, 16, v5
	s_waitcnt vmcnt(0)
	v_mul_f16_sdwa v9, v8, v7 dst_sel:DWORD dst_unused:UNUSED_PAD src0_sel:DWORD src1_sel:WORD_1
	v_mul_f16_sdwa v10, v5, v7 dst_sel:DWORD dst_unused:UNUSED_PAD src0_sel:DWORD src1_sel:WORD_1
	v_fmac_f16_e32 v9, v5, v7
	v_fma_f16 v5, v7, v8, -v10
	v_cvt_f32_f16_e32 v7, v9
	v_cvt_f32_f16_e32 v5, v5
	v_cvt_f64_f32_e32 v[7:8], v7
	v_cvt_f64_f32_e32 v[9:10], v5
	v_mul_f64 v[7:8], v[7:8], s[8:9]
	v_mul_f64 v[9:10], v[9:10], s[8:9]
	v_and_or_b32 v5, 0x1ff, v8, v7
	v_and_or_b32 v9, 0x1ff, v10, v9
	v_lshrrev_b32_e32 v7, 8, v8
	v_bfe_u32 v11, v8, 20, 11
	v_lshrrev_b32_e32 v12, 8, v10
	v_cmp_ne_u32_e32 vcc_lo, 0, v5
	v_bfe_u32 v13, v10, 20, 11
	v_lshrrev_b32_e32 v8, 16, v8
	v_sub_nc_u32_e32 v14, 0x3f1, v11
	v_add_nc_u32_e32 v11, 0xfffffc10, v11
	v_cndmask_b32_e64 v5, 0, 1, vcc_lo
	v_cmp_ne_u32_e32 vcc_lo, 0, v9
	v_lshrrev_b32_e32 v10, 16, v10
	v_and_or_b32 v5, 0xffe, v7, v5
	v_cndmask_b32_e64 v9, 0, 1, vcc_lo
	v_sub_nc_u32_e32 v7, 0x3f1, v13
	v_add_nc_u32_e32 v13, 0xfffffc10, v13
	v_and_or_b32 v9, 0xffe, v12, v9
	v_med3_i32 v12, v14, 0, 13
	v_or_b32_e32 v14, 0x1000, v5
	v_med3_i32 v7, v7, 0, 13
	v_or_b32_e32 v15, 0x1000, v9
	v_lshrrev_b32_e32 v16, v12, v14
	v_lshrrev_b32_e32 v17, v7, v15
	v_lshlrev_b32_e32 v12, v12, v16
	v_lshlrev_b32_e32 v7, v7, v17
	v_cmp_ne_u32_e32 vcc_lo, v12, v14
	v_lshl_or_b32 v14, v11, 12, v5
	v_cndmask_b32_e64 v12, 0, 1, vcc_lo
	v_cmp_ne_u32_e32 vcc_lo, v7, v15
	v_lshl_or_b32 v15, v13, 12, v9
	v_or_b32_e32 v12, v16, v12
	v_cndmask_b32_e64 v7, 0, 1, vcc_lo
	v_cmp_gt_i32_e32 vcc_lo, 1, v11
	v_or_b32_e32 v7, v17, v7
	v_cndmask_b32_e32 v12, v14, v12, vcc_lo
	v_cmp_gt_i32_e32 vcc_lo, 1, v13
	v_and_b32_e32 v14, 7, v12
	v_cndmask_b32_e32 v7, v15, v7, vcc_lo
	v_cmp_ne_u32_e32 vcc_lo, 0, v5
	v_lshrrev_b32_e32 v12, 2, v12
	v_cmp_eq_u32_e64 s0, 3, v14
	v_and_b32_e32 v15, 7, v7
	v_cndmask_b32_e64 v5, 0, 1, vcc_lo
	v_cmp_ne_u32_e32 vcc_lo, 0, v9
	v_lshrrev_b32_e32 v7, 2, v7
	v_cmp_lt_i32_e64 s1, 5, v15
	v_cmp_eq_u32_e64 s2, 3, v15
	v_cndmask_b32_e64 v9, 0, 1, vcc_lo
	v_cmp_lt_i32_e32 vcc_lo, 5, v14
	v_lshl_or_b32 v5, v5, 9, 0x7c00
	v_lshl_or_b32 v9, v9, 9, 0x7c00
	s_or_b32 vcc_lo, s0, vcc_lo
	v_add_co_ci_u32_e32 v12, vcc_lo, 0, v12, vcc_lo
	s_or_b32 vcc_lo, s2, s1
	v_add_co_ci_u32_e32 v7, vcc_lo, 0, v7, vcc_lo
	v_cmp_gt_i32_e32 vcc_lo, 31, v11
	v_cndmask_b32_e32 v12, 0x7c00, v12, vcc_lo
	v_cmp_gt_i32_e32 vcc_lo, 31, v13
	v_cndmask_b32_e32 v7, 0x7c00, v7, vcc_lo
	v_cmp_eq_u32_e32 vcc_lo, 0x40f, v11
	v_cndmask_b32_e32 v5, v12, v5, vcc_lo
	v_cmp_eq_u32_e32 vcc_lo, 0x40f, v13
	v_and_or_b32 v5, 0x8000, v8, v5
	v_cndmask_b32_e32 v7, v7, v9, vcc_lo
	v_add_co_u32 v3, vcc_lo, v3, s6
	v_add_co_ci_u32_e32 v4, vcc_lo, s3, v4, vcc_lo
	v_and_or_b32 v7, 0x8000, v10, v7
	v_and_b32_e32 v5, 0xffff, v5
	v_lshl_or_b32 v5, v7, 16, v5
	v_lshrrev_b32_e32 v7, 16, v6
	global_store_dword v[3:4], v5, off
	global_load_dword v5, v24, s[12:13] offset:224
	s_waitcnt vmcnt(0)
	v_mul_f16_sdwa v8, v7, v5 dst_sel:DWORD dst_unused:UNUSED_PAD src0_sel:DWORD src1_sel:WORD_1
	v_mul_f16_sdwa v9, v6, v5 dst_sel:DWORD dst_unused:UNUSED_PAD src0_sel:DWORD src1_sel:WORD_1
	v_fmac_f16_e32 v8, v6, v5
	v_fma_f16 v5, v5, v7, -v9
	v_cvt_f32_f16_e32 v6, v8
	v_cvt_f32_f16_e32 v7, v5
	v_cvt_f64_f32_e32 v[5:6], v6
	v_cvt_f64_f32_e32 v[7:8], v7
	v_mul_f64 v[5:6], v[5:6], s[8:9]
	v_mul_f64 v[7:8], v[7:8], s[8:9]
	v_and_or_b32 v5, 0x1ff, v6, v5
	v_and_or_b32 v7, 0x1ff, v8, v7
	v_lshrrev_b32_e32 v9, 8, v6
	v_bfe_u32 v10, v6, 20, 11
	v_lshrrev_b32_e32 v11, 8, v8
	v_cmp_ne_u32_e32 vcc_lo, 0, v5
	v_bfe_u32 v12, v8, 20, 11
	v_lshrrev_b32_e32 v6, 16, v6
	v_sub_nc_u32_e32 v13, 0x3f1, v10
	v_add_nc_u32_e32 v10, 0xfffffc10, v10
	v_cndmask_b32_e64 v5, 0, 1, vcc_lo
	v_cmp_ne_u32_e32 vcc_lo, 0, v7
	v_lshrrev_b32_e32 v8, 16, v8
	v_and_or_b32 v5, 0xffe, v9, v5
	v_cndmask_b32_e64 v7, 0, 1, vcc_lo
	v_sub_nc_u32_e32 v9, 0x3f1, v12
	v_add_nc_u32_e32 v12, 0xfffffc10, v12
	v_and_or_b32 v7, 0xffe, v11, v7
	v_med3_i32 v11, v13, 0, 13
	v_or_b32_e32 v13, 0x1000, v5
	v_med3_i32 v9, v9, 0, 13
	v_or_b32_e32 v14, 0x1000, v7
	v_lshrrev_b32_e32 v15, v11, v13
	v_lshrrev_b32_e32 v16, v9, v14
	v_lshlrev_b32_e32 v11, v11, v15
	v_lshlrev_b32_e32 v9, v9, v16
	v_cmp_ne_u32_e32 vcc_lo, v11, v13
	v_lshl_or_b32 v13, v10, 12, v5
	v_cndmask_b32_e64 v11, 0, 1, vcc_lo
	v_cmp_ne_u32_e32 vcc_lo, v9, v14
	v_lshl_or_b32 v14, v12, 12, v7
	v_or_b32_e32 v11, v15, v11
	v_cndmask_b32_e64 v9, 0, 1, vcc_lo
	v_cmp_gt_i32_e32 vcc_lo, 1, v10
	v_or_b32_e32 v9, v16, v9
	v_cndmask_b32_e32 v11, v13, v11, vcc_lo
	v_cmp_gt_i32_e32 vcc_lo, 1, v12
	v_and_b32_e32 v13, 7, v11
	v_cndmask_b32_e32 v9, v14, v9, vcc_lo
	v_cmp_ne_u32_e32 vcc_lo, 0, v5
	v_lshrrev_b32_e32 v11, 2, v11
	v_cmp_eq_u32_e64 s0, 3, v13
	v_and_b32_e32 v14, 7, v9
	v_cndmask_b32_e64 v5, 0, 1, vcc_lo
	v_cmp_ne_u32_e32 vcc_lo, 0, v7
	v_lshrrev_b32_e32 v9, 2, v9
	v_cmp_lt_i32_e64 s1, 5, v14
	v_cmp_eq_u32_e64 s2, 3, v14
	v_cndmask_b32_e64 v7, 0, 1, vcc_lo
	v_cmp_lt_i32_e32 vcc_lo, 5, v13
	v_lshl_or_b32 v5, v5, 9, 0x7c00
	v_lshl_or_b32 v7, v7, 9, 0x7c00
	s_or_b32 vcc_lo, s0, vcc_lo
	v_add_co_ci_u32_e32 v11, vcc_lo, 0, v11, vcc_lo
	s_or_b32 vcc_lo, s2, s1
	v_add_co_ci_u32_e32 v9, vcc_lo, 0, v9, vcc_lo
	v_cmp_gt_i32_e32 vcc_lo, 31, v10
	v_cndmask_b32_e32 v11, 0x7c00, v11, vcc_lo
	v_cmp_gt_i32_e32 vcc_lo, 31, v12
	v_cndmask_b32_e32 v9, 0x7c00, v9, vcc_lo
	v_cmp_eq_u32_e32 vcc_lo, 0x40f, v10
	v_cndmask_b32_e32 v5, v11, v5, vcc_lo
	v_cmp_eq_u32_e32 vcc_lo, 0x40f, v12
	v_and_or_b32 v5, 0x8000, v6, v5
	v_cndmask_b32_e32 v7, v9, v7, vcc_lo
	v_add_co_u32 v3, vcc_lo, v3, s6
	v_add_co_ci_u32_e32 v4, vcc_lo, s3, v4, vcc_lo
	v_and_or_b32 v6, 0x8000, v8, v7
	v_and_b32_e32 v5, 0xffff, v5
	v_lshl_or_b32 v5, v6, 16, v5
	global_store_dword v[3:4], v5, off
	global_load_dword v7, v24, s[12:13] offset:280
	ds_read2_b32 v[5:6], v2 offset0:70 offset1:84
	s_waitcnt lgkmcnt(0)
	v_lshrrev_b32_e32 v8, 16, v5
	s_waitcnt vmcnt(0)
	v_mul_f16_sdwa v9, v8, v7 dst_sel:DWORD dst_unused:UNUSED_PAD src0_sel:DWORD src1_sel:WORD_1
	v_mul_f16_sdwa v10, v5, v7 dst_sel:DWORD dst_unused:UNUSED_PAD src0_sel:DWORD src1_sel:WORD_1
	v_fmac_f16_e32 v9, v5, v7
	v_fma_f16 v5, v7, v8, -v10
	v_cvt_f32_f16_e32 v7, v9
	v_cvt_f32_f16_e32 v5, v5
	v_cvt_f64_f32_e32 v[7:8], v7
	v_cvt_f64_f32_e32 v[9:10], v5
	v_mul_f64 v[7:8], v[7:8], s[8:9]
	v_mul_f64 v[9:10], v[9:10], s[8:9]
	v_and_or_b32 v5, 0x1ff, v8, v7
	v_and_or_b32 v9, 0x1ff, v10, v9
	v_lshrrev_b32_e32 v7, 8, v8
	v_bfe_u32 v11, v8, 20, 11
	v_lshrrev_b32_e32 v12, 8, v10
	v_cmp_ne_u32_e32 vcc_lo, 0, v5
	v_bfe_u32 v13, v10, 20, 11
	v_lshrrev_b32_e32 v8, 16, v8
	v_sub_nc_u32_e32 v14, 0x3f1, v11
	v_add_nc_u32_e32 v11, 0xfffffc10, v11
	v_cndmask_b32_e64 v5, 0, 1, vcc_lo
	v_cmp_ne_u32_e32 vcc_lo, 0, v9
	v_lshrrev_b32_e32 v10, 16, v10
	v_and_or_b32 v5, 0xffe, v7, v5
	v_cndmask_b32_e64 v9, 0, 1, vcc_lo
	v_sub_nc_u32_e32 v7, 0x3f1, v13
	v_add_nc_u32_e32 v13, 0xfffffc10, v13
	v_and_or_b32 v9, 0xffe, v12, v9
	v_med3_i32 v12, v14, 0, 13
	v_or_b32_e32 v14, 0x1000, v5
	v_med3_i32 v7, v7, 0, 13
	v_or_b32_e32 v15, 0x1000, v9
	v_lshrrev_b32_e32 v16, v12, v14
	v_lshrrev_b32_e32 v17, v7, v15
	v_lshlrev_b32_e32 v12, v12, v16
	v_lshlrev_b32_e32 v7, v7, v17
	v_cmp_ne_u32_e32 vcc_lo, v12, v14
	v_lshl_or_b32 v14, v11, 12, v5
	v_cndmask_b32_e64 v12, 0, 1, vcc_lo
	v_cmp_ne_u32_e32 vcc_lo, v7, v15
	v_lshl_or_b32 v15, v13, 12, v9
	v_or_b32_e32 v12, v16, v12
	v_cndmask_b32_e64 v7, 0, 1, vcc_lo
	v_cmp_gt_i32_e32 vcc_lo, 1, v11
	v_or_b32_e32 v7, v17, v7
	v_cndmask_b32_e32 v12, v14, v12, vcc_lo
	v_cmp_gt_i32_e32 vcc_lo, 1, v13
	v_and_b32_e32 v14, 7, v12
	v_cndmask_b32_e32 v7, v15, v7, vcc_lo
	v_cmp_ne_u32_e32 vcc_lo, 0, v5
	v_lshrrev_b32_e32 v12, 2, v12
	v_cmp_eq_u32_e64 s0, 3, v14
	v_and_b32_e32 v15, 7, v7
	v_cndmask_b32_e64 v5, 0, 1, vcc_lo
	v_cmp_ne_u32_e32 vcc_lo, 0, v9
	v_lshrrev_b32_e32 v7, 2, v7
	v_cmp_lt_i32_e64 s1, 5, v15
	v_cmp_eq_u32_e64 s2, 3, v15
	v_cndmask_b32_e64 v9, 0, 1, vcc_lo
	v_cmp_lt_i32_e32 vcc_lo, 5, v14
	v_lshl_or_b32 v5, v5, 9, 0x7c00
	v_lshl_or_b32 v9, v9, 9, 0x7c00
	s_or_b32 vcc_lo, s0, vcc_lo
	v_add_co_ci_u32_e32 v12, vcc_lo, 0, v12, vcc_lo
	s_or_b32 vcc_lo, s2, s1
	v_add_co_ci_u32_e32 v7, vcc_lo, 0, v7, vcc_lo
	v_cmp_gt_i32_e32 vcc_lo, 31, v11
	v_cndmask_b32_e32 v12, 0x7c00, v12, vcc_lo
	v_cmp_gt_i32_e32 vcc_lo, 31, v13
	v_cndmask_b32_e32 v7, 0x7c00, v7, vcc_lo
	v_cmp_eq_u32_e32 vcc_lo, 0x40f, v11
	v_cndmask_b32_e32 v5, v12, v5, vcc_lo
	v_cmp_eq_u32_e32 vcc_lo, 0x40f, v13
	v_and_or_b32 v5, 0x8000, v8, v5
	v_cndmask_b32_e32 v7, v7, v9, vcc_lo
	v_add_co_u32 v3, vcc_lo, v3, s6
	v_add_co_ci_u32_e32 v4, vcc_lo, s3, v4, vcc_lo
	v_and_or_b32 v7, 0x8000, v10, v7
	v_and_b32_e32 v5, 0xffff, v5
	v_lshl_or_b32 v5, v7, 16, v5
	v_lshrrev_b32_e32 v7, 16, v6
	global_store_dword v[3:4], v5, off
	global_load_dword v5, v24, s[12:13] offset:336
	s_waitcnt vmcnt(0)
	v_mul_f16_sdwa v8, v7, v5 dst_sel:DWORD dst_unused:UNUSED_PAD src0_sel:DWORD src1_sel:WORD_1
	v_mul_f16_sdwa v9, v6, v5 dst_sel:DWORD dst_unused:UNUSED_PAD src0_sel:DWORD src1_sel:WORD_1
	v_fmac_f16_e32 v8, v6, v5
	v_fma_f16 v5, v5, v7, -v9
	v_cvt_f32_f16_e32 v6, v8
	v_cvt_f32_f16_e32 v7, v5
	v_cvt_f64_f32_e32 v[5:6], v6
	v_cvt_f64_f32_e32 v[7:8], v7
	v_mul_f64 v[5:6], v[5:6], s[8:9]
	v_mul_f64 v[7:8], v[7:8], s[8:9]
	v_and_or_b32 v5, 0x1ff, v6, v5
	v_and_or_b32 v7, 0x1ff, v8, v7
	v_lshrrev_b32_e32 v9, 8, v6
	v_bfe_u32 v10, v6, 20, 11
	v_lshrrev_b32_e32 v11, 8, v8
	v_cmp_ne_u32_e32 vcc_lo, 0, v5
	v_bfe_u32 v12, v8, 20, 11
	v_lshrrev_b32_e32 v6, 16, v6
	v_sub_nc_u32_e32 v13, 0x3f1, v10
	v_add_nc_u32_e32 v10, 0xfffffc10, v10
	v_cndmask_b32_e64 v5, 0, 1, vcc_lo
	v_cmp_ne_u32_e32 vcc_lo, 0, v7
	v_lshrrev_b32_e32 v8, 16, v8
	v_and_or_b32 v5, 0xffe, v9, v5
	v_cndmask_b32_e64 v7, 0, 1, vcc_lo
	v_sub_nc_u32_e32 v9, 0x3f1, v12
	v_add_nc_u32_e32 v12, 0xfffffc10, v12
	v_and_or_b32 v7, 0xffe, v11, v7
	v_med3_i32 v11, v13, 0, 13
	v_or_b32_e32 v13, 0x1000, v5
	v_med3_i32 v9, v9, 0, 13
	v_or_b32_e32 v14, 0x1000, v7
	v_lshrrev_b32_e32 v15, v11, v13
	v_lshrrev_b32_e32 v16, v9, v14
	v_lshlrev_b32_e32 v11, v11, v15
	v_lshlrev_b32_e32 v9, v9, v16
	v_cmp_ne_u32_e32 vcc_lo, v11, v13
	v_lshl_or_b32 v13, v10, 12, v5
	v_cndmask_b32_e64 v11, 0, 1, vcc_lo
	v_cmp_ne_u32_e32 vcc_lo, v9, v14
	v_lshl_or_b32 v14, v12, 12, v7
	v_or_b32_e32 v11, v15, v11
	v_cndmask_b32_e64 v9, 0, 1, vcc_lo
	v_cmp_gt_i32_e32 vcc_lo, 1, v10
	v_or_b32_e32 v9, v16, v9
	v_cndmask_b32_e32 v11, v13, v11, vcc_lo
	v_cmp_gt_i32_e32 vcc_lo, 1, v12
	v_and_b32_e32 v13, 7, v11
	v_cndmask_b32_e32 v9, v14, v9, vcc_lo
	v_cmp_ne_u32_e32 vcc_lo, 0, v5
	v_lshrrev_b32_e32 v11, 2, v11
	v_cmp_eq_u32_e64 s0, 3, v13
	v_and_b32_e32 v14, 7, v9
	v_cndmask_b32_e64 v5, 0, 1, vcc_lo
	v_cmp_ne_u32_e32 vcc_lo, 0, v7
	v_lshrrev_b32_e32 v9, 2, v9
	v_cmp_lt_i32_e64 s1, 5, v14
	v_cmp_eq_u32_e64 s2, 3, v14
	v_cndmask_b32_e64 v7, 0, 1, vcc_lo
	v_cmp_lt_i32_e32 vcc_lo, 5, v13
	v_lshl_or_b32 v5, v5, 9, 0x7c00
	v_lshl_or_b32 v7, v7, 9, 0x7c00
	s_or_b32 vcc_lo, s0, vcc_lo
	v_add_co_ci_u32_e32 v11, vcc_lo, 0, v11, vcc_lo
	s_or_b32 vcc_lo, s2, s1
	v_add_co_ci_u32_e32 v9, vcc_lo, 0, v9, vcc_lo
	v_cmp_gt_i32_e32 vcc_lo, 31, v10
	v_cndmask_b32_e32 v11, 0x7c00, v11, vcc_lo
	v_cmp_gt_i32_e32 vcc_lo, 31, v12
	v_cndmask_b32_e32 v9, 0x7c00, v9, vcc_lo
	v_cmp_eq_u32_e32 vcc_lo, 0x40f, v10
	v_cndmask_b32_e32 v5, v11, v5, vcc_lo
	v_cmp_eq_u32_e32 vcc_lo, 0x40f, v12
	v_and_or_b32 v5, 0x8000, v6, v5
	v_cndmask_b32_e32 v7, v9, v7, vcc_lo
	v_add_co_u32 v3, vcc_lo, v3, s6
	v_add_co_ci_u32_e32 v4, vcc_lo, s3, v4, vcc_lo
	v_and_or_b32 v6, 0x8000, v8, v7
	v_and_b32_e32 v5, 0xffff, v5
	v_lshl_or_b32 v5, v6, 16, v5
	global_store_dword v[3:4], v5, off
	global_load_dword v7, v24, s[12:13] offset:392
	ds_read2_b32 v[5:6], v2 offset0:98 offset1:112
	s_waitcnt lgkmcnt(0)
	v_lshrrev_b32_e32 v8, 16, v5
	s_waitcnt vmcnt(0)
	v_mul_f16_sdwa v9, v8, v7 dst_sel:DWORD dst_unused:UNUSED_PAD src0_sel:DWORD src1_sel:WORD_1
	v_mul_f16_sdwa v10, v5, v7 dst_sel:DWORD dst_unused:UNUSED_PAD src0_sel:DWORD src1_sel:WORD_1
	v_fmac_f16_e32 v9, v5, v7
	v_fma_f16 v5, v7, v8, -v10
	v_cvt_f32_f16_e32 v7, v9
	v_cvt_f32_f16_e32 v5, v5
	v_cvt_f64_f32_e32 v[7:8], v7
	v_cvt_f64_f32_e32 v[9:10], v5
	v_mul_f64 v[7:8], v[7:8], s[8:9]
	v_mul_f64 v[9:10], v[9:10], s[8:9]
	v_and_or_b32 v5, 0x1ff, v8, v7
	v_and_or_b32 v9, 0x1ff, v10, v9
	v_lshrrev_b32_e32 v7, 8, v8
	v_bfe_u32 v11, v8, 20, 11
	v_lshrrev_b32_e32 v12, 8, v10
	v_cmp_ne_u32_e32 vcc_lo, 0, v5
	v_bfe_u32 v13, v10, 20, 11
	v_lshrrev_b32_e32 v8, 16, v8
	v_sub_nc_u32_e32 v14, 0x3f1, v11
	v_add_nc_u32_e32 v11, 0xfffffc10, v11
	v_cndmask_b32_e64 v5, 0, 1, vcc_lo
	v_cmp_ne_u32_e32 vcc_lo, 0, v9
	v_lshrrev_b32_e32 v10, 16, v10
	v_and_or_b32 v5, 0xffe, v7, v5
	v_cndmask_b32_e64 v9, 0, 1, vcc_lo
	v_sub_nc_u32_e32 v7, 0x3f1, v13
	v_add_nc_u32_e32 v13, 0xfffffc10, v13
	v_and_or_b32 v9, 0xffe, v12, v9
	v_med3_i32 v12, v14, 0, 13
	v_or_b32_e32 v14, 0x1000, v5
	v_med3_i32 v7, v7, 0, 13
	v_or_b32_e32 v15, 0x1000, v9
	v_lshrrev_b32_e32 v16, v12, v14
	v_lshrrev_b32_e32 v17, v7, v15
	v_lshlrev_b32_e32 v12, v12, v16
	v_lshlrev_b32_e32 v7, v7, v17
	v_cmp_ne_u32_e32 vcc_lo, v12, v14
	v_lshl_or_b32 v14, v11, 12, v5
	v_cndmask_b32_e64 v12, 0, 1, vcc_lo
	v_cmp_ne_u32_e32 vcc_lo, v7, v15
	v_lshl_or_b32 v15, v13, 12, v9
	v_or_b32_e32 v12, v16, v12
	v_cndmask_b32_e64 v7, 0, 1, vcc_lo
	v_cmp_gt_i32_e32 vcc_lo, 1, v11
	v_or_b32_e32 v7, v17, v7
	v_cndmask_b32_e32 v12, v14, v12, vcc_lo
	v_cmp_gt_i32_e32 vcc_lo, 1, v13
	v_and_b32_e32 v14, 7, v12
	v_cndmask_b32_e32 v7, v15, v7, vcc_lo
	v_cmp_ne_u32_e32 vcc_lo, 0, v5
	v_lshrrev_b32_e32 v12, 2, v12
	v_cmp_eq_u32_e64 s0, 3, v14
	v_and_b32_e32 v15, 7, v7
	v_cndmask_b32_e64 v5, 0, 1, vcc_lo
	v_cmp_ne_u32_e32 vcc_lo, 0, v9
	v_lshrrev_b32_e32 v7, 2, v7
	v_cmp_lt_i32_e64 s1, 5, v15
	v_cmp_eq_u32_e64 s2, 3, v15
	v_cndmask_b32_e64 v9, 0, 1, vcc_lo
	v_cmp_lt_i32_e32 vcc_lo, 5, v14
	v_lshl_or_b32 v5, v5, 9, 0x7c00
	v_lshl_or_b32 v9, v9, 9, 0x7c00
	s_or_b32 vcc_lo, s0, vcc_lo
	v_add_co_ci_u32_e32 v12, vcc_lo, 0, v12, vcc_lo
	s_or_b32 vcc_lo, s2, s1
	v_add_co_ci_u32_e32 v7, vcc_lo, 0, v7, vcc_lo
	v_cmp_gt_i32_e32 vcc_lo, 31, v11
	v_cndmask_b32_e32 v12, 0x7c00, v12, vcc_lo
	v_cmp_gt_i32_e32 vcc_lo, 31, v13
	v_cndmask_b32_e32 v7, 0x7c00, v7, vcc_lo
	v_cmp_eq_u32_e32 vcc_lo, 0x40f, v11
	v_cndmask_b32_e32 v5, v12, v5, vcc_lo
	v_cmp_eq_u32_e32 vcc_lo, 0x40f, v13
	v_and_or_b32 v5, 0x8000, v8, v5
	v_cndmask_b32_e32 v7, v7, v9, vcc_lo
	v_add_co_u32 v3, vcc_lo, v3, s6
	v_add_co_ci_u32_e32 v4, vcc_lo, s3, v4, vcc_lo
	v_and_or_b32 v7, 0x8000, v10, v7
	v_and_b32_e32 v5, 0xffff, v5
	v_lshl_or_b32 v5, v7, 16, v5
	v_lshrrev_b32_e32 v7, 16, v6
	global_store_dword v[3:4], v5, off
	global_load_dword v5, v24, s[12:13] offset:448
	v_mad_u64_u32 v[3:4], null, 0x70, s4, v[3:4]
	s_waitcnt vmcnt(0)
	v_mul_f16_sdwa v8, v7, v5 dst_sel:DWORD dst_unused:UNUSED_PAD src0_sel:DWORD src1_sel:WORD_1
	v_mul_f16_sdwa v9, v6, v5 dst_sel:DWORD dst_unused:UNUSED_PAD src0_sel:DWORD src1_sel:WORD_1
	v_fmac_f16_e32 v8, v6, v5
	v_fma_f16 v5, v5, v7, -v9
	v_cvt_f32_f16_e32 v6, v8
	v_cvt_f32_f16_e32 v7, v5
	v_cvt_f64_f32_e32 v[5:6], v6
	v_cvt_f64_f32_e32 v[7:8], v7
	v_mul_f64 v[5:6], v[5:6], s[8:9]
	v_mul_f64 v[7:8], v[7:8], s[8:9]
	v_and_or_b32 v5, 0x1ff, v6, v5
	v_and_or_b32 v7, 0x1ff, v8, v7
	v_lshrrev_b32_e32 v9, 8, v6
	v_bfe_u32 v11, v6, 20, 11
	v_bfe_u32 v12, v8, 20, 11
	v_cmp_ne_u32_e32 vcc_lo, 0, v5
	v_lshrrev_b32_e32 v10, 8, v8
	v_lshrrev_b32_e32 v8, 16, v8
	v_sub_nc_u32_e32 v13, 0x3f1, v11
	v_sub_nc_u32_e32 v14, 0x3f1, v12
	v_cndmask_b32_e64 v5, 0, 1, vcc_lo
	v_cmp_ne_u32_e32 vcc_lo, 0, v7
	v_add_nc_u32_e32 v12, 0xfffffc10, v12
	v_and_or_b32 v15, 0xffe, v9, v5
	v_cndmask_b32_e64 v7, 0, 1, vcc_lo
	v_med3_i32 v5, v13, 0, 13
	v_med3_i32 v13, v14, 0, 13
	v_or_b32_e32 v14, 0x1000, v15
	v_and_or_b32 v7, 0xffe, v10, v7
	v_mad_u64_u32 v[9:10], null, s4, v25, 0
	v_lshrrev_b32_e32 v17, v5, v14
	v_or_b32_e32 v16, 0x1000, v7
	v_lshlrev_b32_e32 v19, v5, v17
	v_lshrrev_b32_e32 v18, v13, v16
	v_mov_b32_e32 v5, v10
	v_cmp_ne_u32_e32 vcc_lo, v19, v14
	v_lshlrev_b32_e32 v10, v13, v18
	v_add_nc_u32_e32 v13, 0xfffffc10, v11
	v_cndmask_b32_e64 v14, 0, 1, vcc_lo
	v_cmp_ne_u32_e32 vcc_lo, v10, v16
	v_mad_u64_u32 v[10:11], null, s5, v25, v[5:6]
	v_lshl_or_b32 v5, v13, 12, v15
	v_or_b32_e32 v11, v17, v14
	v_cndmask_b32_e64 v16, 0, 1, vcc_lo
	v_cmp_gt_i32_e32 vcc_lo, 1, v13
	v_lshl_or_b32 v14, v12, 12, v7
	v_lshrrev_b32_e32 v6, 16, v6
	v_or_b32_e32 v16, v18, v16
	v_cndmask_b32_e32 v5, v5, v11, vcc_lo
	v_cmp_gt_i32_e32 vcc_lo, 1, v12
	v_cndmask_b32_e32 v11, v14, v16, vcc_lo
	v_cmp_ne_u32_e32 vcc_lo, 0, v15
	v_and_b32_e32 v15, 7, v5
	v_lshrrev_b32_e32 v5, 2, v5
	v_and_b32_e32 v16, 7, v11
	v_cndmask_b32_e64 v14, 0, 1, vcc_lo
	v_cmp_ne_u32_e32 vcc_lo, 0, v7
	v_cmp_eq_u32_e64 s0, 3, v15
	v_lshrrev_b32_e32 v11, 2, v11
	v_cmp_lt_i32_e64 s1, 5, v16
	v_cmp_eq_u32_e64 s2, 3, v16
	v_cndmask_b32_e64 v7, 0, 1, vcc_lo
	v_cmp_lt_i32_e32 vcc_lo, 5, v15
	v_lshl_or_b32 v14, v14, 9, 0x7c00
	v_lshl_or_b32 v7, v7, 9, 0x7c00
	s_or_b32 vcc_lo, s0, vcc_lo
	v_add_co_ci_u32_e32 v5, vcc_lo, 0, v5, vcc_lo
	s_or_b32 vcc_lo, s2, s1
	v_add_co_ci_u32_e32 v11, vcc_lo, 0, v11, vcc_lo
	v_cmp_gt_i32_e32 vcc_lo, 31, v13
	v_cndmask_b32_e32 v5, 0x7c00, v5, vcc_lo
	v_cmp_gt_i32_e32 vcc_lo, 31, v12
	v_cndmask_b32_e32 v11, 0x7c00, v11, vcc_lo
	v_cmp_eq_u32_e32 vcc_lo, 0x40f, v13
	v_cndmask_b32_e32 v5, v5, v14, vcc_lo
	v_cmp_eq_u32_e32 vcc_lo, 0x40f, v12
	v_cndmask_b32_e32 v7, v11, v7, vcc_lo
	v_and_or_b32 v11, 0x8000, v6, v5
	v_lshlrev_b64 v[5:6], 2, v[9:10]
	v_and_or_b32 v7, 0x8000, v8, v7
	v_and_b32_e32 v8, 0xffff, v11
	v_add_co_u32 v5, vcc_lo, v0, v5
	v_add_co_ci_u32_e32 v6, vcc_lo, v1, v6, vcc_lo
	v_lshl_or_b32 v7, v7, 16, v8
	global_store_dword v[5:6], v7, off
	global_load_dword v7, v24, s[12:13] offset:504
	ds_read2_b32 v[5:6], v2 offset0:126 offset1:140
	s_waitcnt lgkmcnt(0)
	v_lshrrev_b32_e32 v8, 16, v5
	s_waitcnt vmcnt(0)
	v_mul_f16_sdwa v9, v8, v7 dst_sel:DWORD dst_unused:UNUSED_PAD src0_sel:DWORD src1_sel:WORD_1
	v_mul_f16_sdwa v10, v5, v7 dst_sel:DWORD dst_unused:UNUSED_PAD src0_sel:DWORD src1_sel:WORD_1
	v_fmac_f16_e32 v9, v5, v7
	v_fma_f16 v5, v7, v8, -v10
	v_cvt_f32_f16_e32 v7, v9
	v_cvt_f32_f16_e32 v5, v5
	v_cvt_f64_f32_e32 v[7:8], v7
	v_cvt_f64_f32_e32 v[9:10], v5
	v_mul_f64 v[7:8], v[7:8], s[8:9]
	v_mul_f64 v[9:10], v[9:10], s[8:9]
	v_and_or_b32 v5, 0x1ff, v8, v7
	v_and_or_b32 v9, 0x1ff, v10, v9
	v_lshrrev_b32_e32 v7, 8, v8
	v_bfe_u32 v11, v8, 20, 11
	v_lshrrev_b32_e32 v12, 8, v10
	v_cmp_ne_u32_e32 vcc_lo, 0, v5
	v_bfe_u32 v13, v10, 20, 11
	v_lshrrev_b32_e32 v8, 16, v8
	v_sub_nc_u32_e32 v14, 0x3f1, v11
	v_add_nc_u32_e32 v11, 0xfffffc10, v11
	v_cndmask_b32_e64 v5, 0, 1, vcc_lo
	v_cmp_ne_u32_e32 vcc_lo, 0, v9
	v_lshrrev_b32_e32 v10, 16, v10
	v_and_or_b32 v5, 0xffe, v7, v5
	v_cndmask_b32_e64 v9, 0, 1, vcc_lo
	v_sub_nc_u32_e32 v7, 0x3f1, v13
	v_add_nc_u32_e32 v13, 0xfffffc10, v13
	v_and_or_b32 v9, 0xffe, v12, v9
	v_med3_i32 v12, v14, 0, 13
	v_or_b32_e32 v14, 0x1000, v5
	v_med3_i32 v7, v7, 0, 13
	v_or_b32_e32 v15, 0x1000, v9
	v_lshrrev_b32_e32 v16, v12, v14
	v_lshrrev_b32_e32 v17, v7, v15
	v_lshlrev_b32_e32 v12, v12, v16
	v_lshlrev_b32_e32 v7, v7, v17
	v_cmp_ne_u32_e32 vcc_lo, v12, v14
	v_lshl_or_b32 v14, v11, 12, v5
	v_cndmask_b32_e64 v12, 0, 1, vcc_lo
	v_cmp_ne_u32_e32 vcc_lo, v7, v15
	v_lshl_or_b32 v15, v13, 12, v9
	v_or_b32_e32 v12, v16, v12
	v_cndmask_b32_e64 v7, 0, 1, vcc_lo
	v_cmp_gt_i32_e32 vcc_lo, 1, v11
	v_or_b32_e32 v7, v17, v7
	v_cndmask_b32_e32 v12, v14, v12, vcc_lo
	v_cmp_gt_i32_e32 vcc_lo, 1, v13
	v_and_b32_e32 v14, 7, v12
	v_cndmask_b32_e32 v7, v15, v7, vcc_lo
	v_cmp_ne_u32_e32 vcc_lo, 0, v5
	v_lshrrev_b32_e32 v12, 2, v12
	v_cmp_eq_u32_e64 s0, 3, v14
	v_and_b32_e32 v15, 7, v7
	v_cndmask_b32_e64 v5, 0, 1, vcc_lo
	v_cmp_ne_u32_e32 vcc_lo, 0, v9
	v_lshrrev_b32_e32 v7, 2, v7
	v_cmp_lt_i32_e64 s1, 5, v15
	v_cmp_eq_u32_e64 s2, 3, v15
	v_cndmask_b32_e64 v9, 0, 1, vcc_lo
	v_cmp_lt_i32_e32 vcc_lo, 5, v14
	v_lshl_or_b32 v5, v5, 9, 0x7c00
	v_lshl_or_b32 v9, v9, 9, 0x7c00
	s_or_b32 vcc_lo, s0, vcc_lo
	v_add_co_ci_u32_e32 v12, vcc_lo, 0, v12, vcc_lo
	s_or_b32 vcc_lo, s2, s1
	v_add_co_ci_u32_e32 v7, vcc_lo, 0, v7, vcc_lo
	v_cmp_gt_i32_e32 vcc_lo, 31, v11
	v_cndmask_b32_e32 v12, 0x7c00, v12, vcc_lo
	v_cmp_gt_i32_e32 vcc_lo, 31, v13
	v_cndmask_b32_e32 v7, 0x7c00, v7, vcc_lo
	v_cmp_eq_u32_e32 vcc_lo, 0x40f, v11
	v_cndmask_b32_e32 v5, v12, v5, vcc_lo
	v_cmp_eq_u32_e32 vcc_lo, 0x40f, v13
	v_and_or_b32 v8, 0x8000, v8, v5
	v_cndmask_b32_e32 v7, v7, v9, vcc_lo
	v_mad_u64_u32 v[4:5], null, 0x70, s5, v[4:5]
	v_and_or_b32 v5, 0x8000, v10, v7
	v_and_b32_e32 v7, 0xffff, v8
	v_lshl_or_b32 v5, v5, 16, v7
	v_lshrrev_b32_e32 v7, 16, v6
	global_store_dword v[3:4], v5, off
	global_load_dword v5, v24, s[12:13] offset:560
	s_waitcnt vmcnt(0)
	v_mul_f16_sdwa v8, v7, v5 dst_sel:DWORD dst_unused:UNUSED_PAD src0_sel:DWORD src1_sel:WORD_1
	v_mul_f16_sdwa v9, v6, v5 dst_sel:DWORD dst_unused:UNUSED_PAD src0_sel:DWORD src1_sel:WORD_1
	v_fmac_f16_e32 v8, v6, v5
	v_fma_f16 v5, v5, v7, -v9
	v_cvt_f32_f16_e32 v6, v8
	v_cvt_f32_f16_e32 v7, v5
	v_cvt_f64_f32_e32 v[5:6], v6
	v_cvt_f64_f32_e32 v[7:8], v7
	v_mul_f64 v[5:6], v[5:6], s[8:9]
	v_mul_f64 v[7:8], v[7:8], s[8:9]
	v_and_or_b32 v5, 0x1ff, v6, v5
	v_and_or_b32 v7, 0x1ff, v8, v7
	v_lshrrev_b32_e32 v9, 8, v6
	v_bfe_u32 v10, v6, 20, 11
	v_lshrrev_b32_e32 v11, 8, v8
	v_cmp_ne_u32_e32 vcc_lo, 0, v5
	v_bfe_u32 v12, v8, 20, 11
	v_lshrrev_b32_e32 v6, 16, v6
	v_sub_nc_u32_e32 v13, 0x3f1, v10
	v_add_nc_u32_e32 v10, 0xfffffc10, v10
	v_cndmask_b32_e64 v5, 0, 1, vcc_lo
	v_cmp_ne_u32_e32 vcc_lo, 0, v7
	v_lshrrev_b32_e32 v8, 16, v8
	v_and_or_b32 v5, 0xffe, v9, v5
	v_cndmask_b32_e64 v7, 0, 1, vcc_lo
	v_sub_nc_u32_e32 v9, 0x3f1, v12
	v_add_nc_u32_e32 v12, 0xfffffc10, v12
	v_and_or_b32 v7, 0xffe, v11, v7
	v_med3_i32 v11, v13, 0, 13
	v_or_b32_e32 v13, 0x1000, v5
	v_med3_i32 v9, v9, 0, 13
	v_or_b32_e32 v14, 0x1000, v7
	v_lshrrev_b32_e32 v15, v11, v13
	v_lshrrev_b32_e32 v16, v9, v14
	v_lshlrev_b32_e32 v11, v11, v15
	v_lshlrev_b32_e32 v9, v9, v16
	v_cmp_ne_u32_e32 vcc_lo, v11, v13
	v_lshl_or_b32 v13, v10, 12, v5
	v_cndmask_b32_e64 v11, 0, 1, vcc_lo
	v_cmp_ne_u32_e32 vcc_lo, v9, v14
	v_lshl_or_b32 v14, v12, 12, v7
	v_or_b32_e32 v11, v15, v11
	v_cndmask_b32_e64 v9, 0, 1, vcc_lo
	v_cmp_gt_i32_e32 vcc_lo, 1, v10
	v_or_b32_e32 v9, v16, v9
	v_cndmask_b32_e32 v11, v13, v11, vcc_lo
	v_cmp_gt_i32_e32 vcc_lo, 1, v12
	v_and_b32_e32 v13, 7, v11
	v_cndmask_b32_e32 v9, v14, v9, vcc_lo
	v_cmp_ne_u32_e32 vcc_lo, 0, v5
	v_lshrrev_b32_e32 v11, 2, v11
	v_cmp_eq_u32_e64 s0, 3, v13
	v_and_b32_e32 v14, 7, v9
	v_cndmask_b32_e64 v5, 0, 1, vcc_lo
	v_cmp_ne_u32_e32 vcc_lo, 0, v7
	v_lshrrev_b32_e32 v9, 2, v9
	v_cmp_lt_i32_e64 s1, 5, v14
	v_cmp_eq_u32_e64 s2, 3, v14
	v_cndmask_b32_e64 v7, 0, 1, vcc_lo
	v_cmp_lt_i32_e32 vcc_lo, 5, v13
	v_lshl_or_b32 v5, v5, 9, 0x7c00
	v_lshl_or_b32 v7, v7, 9, 0x7c00
	s_or_b32 vcc_lo, s0, vcc_lo
	v_add_co_ci_u32_e32 v11, vcc_lo, 0, v11, vcc_lo
	s_or_b32 vcc_lo, s2, s1
	v_add_co_ci_u32_e32 v9, vcc_lo, 0, v9, vcc_lo
	v_cmp_gt_i32_e32 vcc_lo, 31, v10
	v_cndmask_b32_e32 v11, 0x7c00, v11, vcc_lo
	v_cmp_gt_i32_e32 vcc_lo, 31, v12
	v_cndmask_b32_e32 v9, 0x7c00, v9, vcc_lo
	v_cmp_eq_u32_e32 vcc_lo, 0x40f, v10
	v_cndmask_b32_e32 v5, v11, v5, vcc_lo
	v_cmp_eq_u32_e32 vcc_lo, 0x40f, v12
	v_and_or_b32 v5, 0x8000, v6, v5
	v_cndmask_b32_e32 v7, v9, v7, vcc_lo
	v_add_co_u32 v3, vcc_lo, v3, s6
	v_add_co_ci_u32_e32 v4, vcc_lo, s3, v4, vcc_lo
	v_and_or_b32 v6, 0x8000, v8, v7
	v_and_b32_e32 v5, 0xffff, v5
	v_lshl_or_b32 v5, v6, 16, v5
	global_store_dword v[3:4], v5, off
	global_load_dword v7, v24, s[12:13] offset:616
	ds_read2_b32 v[5:6], v2 offset0:154 offset1:168
	s_waitcnt lgkmcnt(0)
	v_lshrrev_b32_e32 v8, 16, v5
	s_waitcnt vmcnt(0)
	v_mul_f16_sdwa v9, v8, v7 dst_sel:DWORD dst_unused:UNUSED_PAD src0_sel:DWORD src1_sel:WORD_1
	v_mul_f16_sdwa v10, v5, v7 dst_sel:DWORD dst_unused:UNUSED_PAD src0_sel:DWORD src1_sel:WORD_1
	v_fmac_f16_e32 v9, v5, v7
	v_fma_f16 v5, v7, v8, -v10
	v_cvt_f32_f16_e32 v7, v9
	v_cvt_f32_f16_e32 v5, v5
	v_cvt_f64_f32_e32 v[7:8], v7
	v_cvt_f64_f32_e32 v[9:10], v5
	v_mul_f64 v[7:8], v[7:8], s[8:9]
	v_mul_f64 v[9:10], v[9:10], s[8:9]
	v_and_or_b32 v5, 0x1ff, v8, v7
	v_and_or_b32 v9, 0x1ff, v10, v9
	v_lshrrev_b32_e32 v7, 8, v8
	v_bfe_u32 v11, v8, 20, 11
	v_lshrrev_b32_e32 v12, 8, v10
	v_cmp_ne_u32_e32 vcc_lo, 0, v5
	v_bfe_u32 v13, v10, 20, 11
	v_lshrrev_b32_e32 v8, 16, v8
	v_sub_nc_u32_e32 v14, 0x3f1, v11
	v_add_nc_u32_e32 v11, 0xfffffc10, v11
	v_cndmask_b32_e64 v5, 0, 1, vcc_lo
	v_cmp_ne_u32_e32 vcc_lo, 0, v9
	v_lshrrev_b32_e32 v10, 16, v10
	v_and_or_b32 v5, 0xffe, v7, v5
	v_cndmask_b32_e64 v9, 0, 1, vcc_lo
	v_sub_nc_u32_e32 v7, 0x3f1, v13
	v_add_nc_u32_e32 v13, 0xfffffc10, v13
	v_and_or_b32 v9, 0xffe, v12, v9
	v_med3_i32 v12, v14, 0, 13
	v_or_b32_e32 v14, 0x1000, v5
	v_med3_i32 v7, v7, 0, 13
	v_or_b32_e32 v15, 0x1000, v9
	v_lshrrev_b32_e32 v16, v12, v14
	v_lshrrev_b32_e32 v17, v7, v15
	v_lshlrev_b32_e32 v12, v12, v16
	v_lshlrev_b32_e32 v7, v7, v17
	v_cmp_ne_u32_e32 vcc_lo, v12, v14
	v_lshl_or_b32 v14, v11, 12, v5
	v_cndmask_b32_e64 v12, 0, 1, vcc_lo
	v_cmp_ne_u32_e32 vcc_lo, v7, v15
	v_lshl_or_b32 v15, v13, 12, v9
	v_or_b32_e32 v12, v16, v12
	v_cndmask_b32_e64 v7, 0, 1, vcc_lo
	v_cmp_gt_i32_e32 vcc_lo, 1, v11
	v_or_b32_e32 v7, v17, v7
	v_cndmask_b32_e32 v12, v14, v12, vcc_lo
	v_cmp_gt_i32_e32 vcc_lo, 1, v13
	v_and_b32_e32 v14, 7, v12
	v_cndmask_b32_e32 v7, v15, v7, vcc_lo
	v_cmp_ne_u32_e32 vcc_lo, 0, v5
	v_lshrrev_b32_e32 v12, 2, v12
	v_cmp_eq_u32_e64 s0, 3, v14
	v_and_b32_e32 v15, 7, v7
	v_cndmask_b32_e64 v5, 0, 1, vcc_lo
	v_cmp_ne_u32_e32 vcc_lo, 0, v9
	v_lshrrev_b32_e32 v7, 2, v7
	v_cmp_lt_i32_e64 s1, 5, v15
	v_cmp_eq_u32_e64 s2, 3, v15
	v_cndmask_b32_e64 v9, 0, 1, vcc_lo
	v_cmp_lt_i32_e32 vcc_lo, 5, v14
	v_lshl_or_b32 v5, v5, 9, 0x7c00
	v_lshl_or_b32 v9, v9, 9, 0x7c00
	s_or_b32 vcc_lo, s0, vcc_lo
	v_add_co_ci_u32_e32 v12, vcc_lo, 0, v12, vcc_lo
	s_or_b32 vcc_lo, s2, s1
	v_add_co_ci_u32_e32 v7, vcc_lo, 0, v7, vcc_lo
	v_cmp_gt_i32_e32 vcc_lo, 31, v11
	v_cndmask_b32_e32 v12, 0x7c00, v12, vcc_lo
	v_cmp_gt_i32_e32 vcc_lo, 31, v13
	v_cndmask_b32_e32 v7, 0x7c00, v7, vcc_lo
	v_cmp_eq_u32_e32 vcc_lo, 0x40f, v11
	v_cndmask_b32_e32 v5, v12, v5, vcc_lo
	v_cmp_eq_u32_e32 vcc_lo, 0x40f, v13
	v_and_or_b32 v5, 0x8000, v8, v5
	v_cndmask_b32_e32 v7, v7, v9, vcc_lo
	v_add_co_u32 v3, vcc_lo, v3, s6
	v_add_co_ci_u32_e32 v4, vcc_lo, s3, v4, vcc_lo
	v_and_or_b32 v7, 0x8000, v10, v7
	v_and_b32_e32 v5, 0xffff, v5
	v_lshl_or_b32 v5, v7, 16, v5
	v_lshrrev_b32_e32 v7, 16, v6
	global_store_dword v[3:4], v5, off
	global_load_dword v5, v24, s[12:13] offset:672
	s_waitcnt vmcnt(0)
	v_mul_f16_sdwa v8, v7, v5 dst_sel:DWORD dst_unused:UNUSED_PAD src0_sel:DWORD src1_sel:WORD_1
	v_mul_f16_sdwa v9, v6, v5 dst_sel:DWORD dst_unused:UNUSED_PAD src0_sel:DWORD src1_sel:WORD_1
	v_fmac_f16_e32 v8, v6, v5
	v_fma_f16 v5, v5, v7, -v9
	v_cvt_f32_f16_e32 v6, v8
	v_cvt_f32_f16_e32 v7, v5
	v_cvt_f64_f32_e32 v[5:6], v6
	v_cvt_f64_f32_e32 v[7:8], v7
	v_mul_f64 v[5:6], v[5:6], s[8:9]
	v_mul_f64 v[7:8], v[7:8], s[8:9]
	v_and_or_b32 v5, 0x1ff, v6, v5
	v_and_or_b32 v7, 0x1ff, v8, v7
	v_lshrrev_b32_e32 v9, 8, v6
	v_bfe_u32 v10, v6, 20, 11
	v_lshrrev_b32_e32 v11, 8, v8
	v_cmp_ne_u32_e32 vcc_lo, 0, v5
	v_bfe_u32 v12, v8, 20, 11
	v_lshrrev_b32_e32 v6, 16, v6
	v_sub_nc_u32_e32 v13, 0x3f1, v10
	v_add_nc_u32_e32 v10, 0xfffffc10, v10
	v_cndmask_b32_e64 v5, 0, 1, vcc_lo
	v_cmp_ne_u32_e32 vcc_lo, 0, v7
	v_lshrrev_b32_e32 v8, 16, v8
	v_and_or_b32 v5, 0xffe, v9, v5
	v_cndmask_b32_e64 v7, 0, 1, vcc_lo
	v_sub_nc_u32_e32 v9, 0x3f1, v12
	v_add_nc_u32_e32 v12, 0xfffffc10, v12
	v_and_or_b32 v7, 0xffe, v11, v7
	v_med3_i32 v11, v13, 0, 13
	v_or_b32_e32 v13, 0x1000, v5
	v_med3_i32 v9, v9, 0, 13
	v_or_b32_e32 v14, 0x1000, v7
	v_lshrrev_b32_e32 v15, v11, v13
	v_lshrrev_b32_e32 v16, v9, v14
	v_lshlrev_b32_e32 v11, v11, v15
	v_lshlrev_b32_e32 v9, v9, v16
	v_cmp_ne_u32_e32 vcc_lo, v11, v13
	v_lshl_or_b32 v13, v10, 12, v5
	v_cndmask_b32_e64 v11, 0, 1, vcc_lo
	v_cmp_ne_u32_e32 vcc_lo, v9, v14
	v_lshl_or_b32 v14, v12, 12, v7
	v_or_b32_e32 v11, v15, v11
	v_cndmask_b32_e64 v9, 0, 1, vcc_lo
	v_cmp_gt_i32_e32 vcc_lo, 1, v10
	v_or_b32_e32 v9, v16, v9
	v_cndmask_b32_e32 v11, v13, v11, vcc_lo
	v_cmp_gt_i32_e32 vcc_lo, 1, v12
	v_and_b32_e32 v13, 7, v11
	v_cndmask_b32_e32 v9, v14, v9, vcc_lo
	v_cmp_ne_u32_e32 vcc_lo, 0, v5
	v_lshrrev_b32_e32 v11, 2, v11
	v_cmp_eq_u32_e64 s0, 3, v13
	v_and_b32_e32 v14, 7, v9
	v_cndmask_b32_e64 v5, 0, 1, vcc_lo
	v_cmp_ne_u32_e32 vcc_lo, 0, v7
	v_lshrrev_b32_e32 v9, 2, v9
	v_cmp_lt_i32_e64 s1, 5, v14
	v_cmp_eq_u32_e64 s2, 3, v14
	v_cndmask_b32_e64 v7, 0, 1, vcc_lo
	v_cmp_lt_i32_e32 vcc_lo, 5, v13
	v_lshl_or_b32 v5, v5, 9, 0x7c00
	v_lshl_or_b32 v7, v7, 9, 0x7c00
	s_or_b32 vcc_lo, s0, vcc_lo
	v_add_co_ci_u32_e32 v11, vcc_lo, 0, v11, vcc_lo
	s_or_b32 vcc_lo, s2, s1
	v_add_co_ci_u32_e32 v9, vcc_lo, 0, v9, vcc_lo
	v_cmp_gt_i32_e32 vcc_lo, 31, v10
	v_cndmask_b32_e32 v11, 0x7c00, v11, vcc_lo
	v_cmp_gt_i32_e32 vcc_lo, 31, v12
	v_cndmask_b32_e32 v9, 0x7c00, v9, vcc_lo
	v_cmp_eq_u32_e32 vcc_lo, 0x40f, v10
	v_cndmask_b32_e32 v5, v11, v5, vcc_lo
	v_cmp_eq_u32_e32 vcc_lo, 0x40f, v12
	v_and_or_b32 v5, 0x8000, v6, v5
	v_cndmask_b32_e32 v7, v9, v7, vcc_lo
	v_add_co_u32 v3, vcc_lo, v3, s6
	v_add_co_ci_u32_e32 v4, vcc_lo, s3, v4, vcc_lo
	v_and_or_b32 v6, 0x8000, v8, v7
	v_and_b32_e32 v5, 0xffff, v5
	v_lshl_or_b32 v5, v6, 16, v5
	global_store_dword v[3:4], v5, off
	global_load_dword v7, v24, s[12:13] offset:728
	ds_read2_b32 v[5:6], v2 offset0:182 offset1:196
	s_waitcnt lgkmcnt(0)
	v_lshrrev_b32_e32 v8, 16, v5
	s_waitcnt vmcnt(0)
	v_mul_f16_sdwa v9, v8, v7 dst_sel:DWORD dst_unused:UNUSED_PAD src0_sel:DWORD src1_sel:WORD_1
	v_mul_f16_sdwa v10, v5, v7 dst_sel:DWORD dst_unused:UNUSED_PAD src0_sel:DWORD src1_sel:WORD_1
	v_fmac_f16_e32 v9, v5, v7
	v_fma_f16 v5, v7, v8, -v10
	v_cvt_f32_f16_e32 v7, v9
	v_cvt_f32_f16_e32 v5, v5
	v_cvt_f64_f32_e32 v[7:8], v7
	v_cvt_f64_f32_e32 v[9:10], v5
	v_mul_f64 v[7:8], v[7:8], s[8:9]
	v_mul_f64 v[9:10], v[9:10], s[8:9]
	v_and_or_b32 v5, 0x1ff, v8, v7
	v_and_or_b32 v9, 0x1ff, v10, v9
	v_lshrrev_b32_e32 v7, 8, v8
	v_bfe_u32 v11, v8, 20, 11
	v_lshrrev_b32_e32 v12, 8, v10
	v_cmp_ne_u32_e32 vcc_lo, 0, v5
	v_bfe_u32 v13, v10, 20, 11
	v_lshrrev_b32_e32 v8, 16, v8
	v_sub_nc_u32_e32 v14, 0x3f1, v11
	v_add_nc_u32_e32 v11, 0xfffffc10, v11
	v_cndmask_b32_e64 v5, 0, 1, vcc_lo
	v_cmp_ne_u32_e32 vcc_lo, 0, v9
	v_lshrrev_b32_e32 v10, 16, v10
	v_and_or_b32 v5, 0xffe, v7, v5
	v_cndmask_b32_e64 v9, 0, 1, vcc_lo
	v_sub_nc_u32_e32 v7, 0x3f1, v13
	v_add_nc_u32_e32 v13, 0xfffffc10, v13
	v_and_or_b32 v9, 0xffe, v12, v9
	v_med3_i32 v12, v14, 0, 13
	v_or_b32_e32 v14, 0x1000, v5
	v_med3_i32 v7, v7, 0, 13
	v_or_b32_e32 v15, 0x1000, v9
	v_lshrrev_b32_e32 v16, v12, v14
	v_lshrrev_b32_e32 v17, v7, v15
	v_lshlrev_b32_e32 v12, v12, v16
	v_lshlrev_b32_e32 v7, v7, v17
	v_cmp_ne_u32_e32 vcc_lo, v12, v14
	v_lshl_or_b32 v14, v11, 12, v5
	v_cndmask_b32_e64 v12, 0, 1, vcc_lo
	v_cmp_ne_u32_e32 vcc_lo, v7, v15
	v_lshl_or_b32 v15, v13, 12, v9
	v_or_b32_e32 v12, v16, v12
	v_cndmask_b32_e64 v7, 0, 1, vcc_lo
	v_cmp_gt_i32_e32 vcc_lo, 1, v11
	v_or_b32_e32 v7, v17, v7
	v_cndmask_b32_e32 v12, v14, v12, vcc_lo
	v_cmp_gt_i32_e32 vcc_lo, 1, v13
	v_and_b32_e32 v14, 7, v12
	v_cndmask_b32_e32 v7, v15, v7, vcc_lo
	v_cmp_ne_u32_e32 vcc_lo, 0, v5
	v_lshrrev_b32_e32 v12, 2, v12
	v_cmp_eq_u32_e64 s0, 3, v14
	v_and_b32_e32 v15, 7, v7
	v_cndmask_b32_e64 v5, 0, 1, vcc_lo
	v_cmp_ne_u32_e32 vcc_lo, 0, v9
	v_lshrrev_b32_e32 v7, 2, v7
	v_cmp_lt_i32_e64 s1, 5, v15
	v_cmp_eq_u32_e64 s2, 3, v15
	v_cndmask_b32_e64 v9, 0, 1, vcc_lo
	v_cmp_lt_i32_e32 vcc_lo, 5, v14
	v_lshl_or_b32 v5, v5, 9, 0x7c00
	v_lshl_or_b32 v9, v9, 9, 0x7c00
	s_or_b32 vcc_lo, s0, vcc_lo
	v_add_co_ci_u32_e32 v12, vcc_lo, 0, v12, vcc_lo
	s_or_b32 vcc_lo, s2, s1
	v_add_co_ci_u32_e32 v7, vcc_lo, 0, v7, vcc_lo
	v_cmp_gt_i32_e32 vcc_lo, 31, v11
	v_cndmask_b32_e32 v12, 0x7c00, v12, vcc_lo
	v_cmp_gt_i32_e32 vcc_lo, 31, v13
	v_cndmask_b32_e32 v7, 0x7c00, v7, vcc_lo
	v_cmp_eq_u32_e32 vcc_lo, 0x40f, v11
	v_cndmask_b32_e32 v5, v12, v5, vcc_lo
	v_cmp_eq_u32_e32 vcc_lo, 0x40f, v13
	v_and_or_b32 v5, 0x8000, v8, v5
	v_cndmask_b32_e32 v7, v7, v9, vcc_lo
	v_add_co_u32 v3, vcc_lo, v3, s6
	v_add_co_ci_u32_e32 v4, vcc_lo, s3, v4, vcc_lo
	v_and_or_b32 v7, 0x8000, v10, v7
	v_and_b32_e32 v5, 0xffff, v5
	v_lshl_or_b32 v5, v7, 16, v5
	v_lshrrev_b32_e32 v7, 16, v6
	global_store_dword v[3:4], v5, off
	global_load_dword v5, v24, s[12:13] offset:784
	s_waitcnt vmcnt(0)
	v_mul_f16_sdwa v8, v7, v5 dst_sel:DWORD dst_unused:UNUSED_PAD src0_sel:DWORD src1_sel:WORD_1
	v_mul_f16_sdwa v9, v6, v5 dst_sel:DWORD dst_unused:UNUSED_PAD src0_sel:DWORD src1_sel:WORD_1
	v_fmac_f16_e32 v8, v6, v5
	v_fma_f16 v5, v5, v7, -v9
	v_cvt_f32_f16_e32 v6, v8
	v_cvt_f32_f16_e32 v7, v5
	v_cvt_f64_f32_e32 v[5:6], v6
	v_cvt_f64_f32_e32 v[7:8], v7
	v_mul_f64 v[5:6], v[5:6], s[8:9]
	v_mul_f64 v[7:8], v[7:8], s[8:9]
	v_and_or_b32 v5, 0x1ff, v6, v5
	v_and_or_b32 v7, 0x1ff, v8, v7
	v_lshrrev_b32_e32 v9, 8, v6
	v_bfe_u32 v10, v6, 20, 11
	v_lshrrev_b32_e32 v11, 8, v8
	v_cmp_ne_u32_e32 vcc_lo, 0, v5
	v_bfe_u32 v12, v8, 20, 11
	v_lshrrev_b32_e32 v6, 16, v6
	v_sub_nc_u32_e32 v13, 0x3f1, v10
	v_add_nc_u32_e32 v10, 0xfffffc10, v10
	v_cndmask_b32_e64 v5, 0, 1, vcc_lo
	v_cmp_ne_u32_e32 vcc_lo, 0, v7
	v_lshrrev_b32_e32 v8, 16, v8
	v_and_or_b32 v5, 0xffe, v9, v5
	v_cndmask_b32_e64 v7, 0, 1, vcc_lo
	v_sub_nc_u32_e32 v9, 0x3f1, v12
	v_add_nc_u32_e32 v12, 0xfffffc10, v12
	v_and_or_b32 v7, 0xffe, v11, v7
	v_med3_i32 v11, v13, 0, 13
	v_or_b32_e32 v13, 0x1000, v5
	v_med3_i32 v9, v9, 0, 13
	v_or_b32_e32 v14, 0x1000, v7
	v_lshrrev_b32_e32 v15, v11, v13
	v_lshrrev_b32_e32 v16, v9, v14
	v_lshlrev_b32_e32 v11, v11, v15
	v_lshlrev_b32_e32 v9, v9, v16
	v_cmp_ne_u32_e32 vcc_lo, v11, v13
	v_lshl_or_b32 v13, v10, 12, v5
	v_cndmask_b32_e64 v11, 0, 1, vcc_lo
	v_cmp_ne_u32_e32 vcc_lo, v9, v14
	v_lshl_or_b32 v14, v12, 12, v7
	v_or_b32_e32 v11, v15, v11
	v_cndmask_b32_e64 v9, 0, 1, vcc_lo
	v_cmp_gt_i32_e32 vcc_lo, 1, v10
	v_or_b32_e32 v9, v16, v9
	v_cndmask_b32_e32 v11, v13, v11, vcc_lo
	v_cmp_gt_i32_e32 vcc_lo, 1, v12
	v_and_b32_e32 v13, 7, v11
	v_cndmask_b32_e32 v9, v14, v9, vcc_lo
	v_cmp_ne_u32_e32 vcc_lo, 0, v5
	v_lshrrev_b32_e32 v11, 2, v11
	v_cmp_eq_u32_e64 s0, 3, v13
	v_and_b32_e32 v14, 7, v9
	v_cndmask_b32_e64 v5, 0, 1, vcc_lo
	v_cmp_ne_u32_e32 vcc_lo, 0, v7
	v_lshrrev_b32_e32 v9, 2, v9
	v_cmp_lt_i32_e64 s1, 5, v14
	v_cmp_eq_u32_e64 s2, 3, v14
	v_cndmask_b32_e64 v7, 0, 1, vcc_lo
	v_cmp_lt_i32_e32 vcc_lo, 5, v13
	v_lshl_or_b32 v5, v5, 9, 0x7c00
	v_lshl_or_b32 v7, v7, 9, 0x7c00
	s_or_b32 vcc_lo, s0, vcc_lo
	v_add_co_ci_u32_e32 v11, vcc_lo, 0, v11, vcc_lo
	s_or_b32 vcc_lo, s2, s1
	v_add_co_ci_u32_e32 v9, vcc_lo, 0, v9, vcc_lo
	v_cmp_gt_i32_e32 vcc_lo, 31, v10
	v_cndmask_b32_e32 v11, 0x7c00, v11, vcc_lo
	v_cmp_gt_i32_e32 vcc_lo, 31, v12
	v_cndmask_b32_e32 v9, 0x7c00, v9, vcc_lo
	v_cmp_eq_u32_e32 vcc_lo, 0x40f, v10
	v_cndmask_b32_e32 v5, v11, v5, vcc_lo
	v_cmp_eq_u32_e32 vcc_lo, 0x40f, v12
	v_and_or_b32 v5, 0x8000, v6, v5
	v_cndmask_b32_e32 v7, v9, v7, vcc_lo
	v_add_co_u32 v3, vcc_lo, v3, s6
	v_add_co_ci_u32_e32 v4, vcc_lo, s3, v4, vcc_lo
	v_and_or_b32 v6, 0x8000, v8, v7
	v_and_b32_e32 v5, 0xffff, v5
	v_lshl_or_b32 v5, v6, 16, v5
	global_store_dword v[3:4], v5, off
	global_load_dword v7, v24, s[12:13] offset:840
	ds_read2_b32 v[5:6], v2 offset0:210 offset1:224
	s_waitcnt lgkmcnt(0)
	v_lshrrev_b32_e32 v2, 16, v5
	s_waitcnt vmcnt(0)
	v_mul_f16_sdwa v8, v2, v7 dst_sel:DWORD dst_unused:UNUSED_PAD src0_sel:DWORD src1_sel:WORD_1
	v_mul_f16_sdwa v9, v5, v7 dst_sel:DWORD dst_unused:UNUSED_PAD src0_sel:DWORD src1_sel:WORD_1
	v_fmac_f16_e32 v8, v5, v7
	v_fma_f16 v2, v7, v2, -v9
	v_cvt_f32_f16_e32 v5, v8
	v_cvt_f32_f16_e32 v2, v2
	v_cvt_f64_f32_e32 v[7:8], v5
	v_cvt_f64_f32_e32 v[9:10], v2
	v_mul_f64 v[7:8], v[7:8], s[8:9]
	v_mul_f64 v[9:10], v[9:10], s[8:9]
	v_and_or_b32 v2, 0x1ff, v8, v7
	v_and_or_b32 v9, 0x1ff, v10, v9
	v_lshrrev_b32_e32 v5, 8, v8
	v_bfe_u32 v7, v8, 20, 11
	v_lshrrev_b32_e32 v11, 8, v10
	v_cmp_ne_u32_e32 vcc_lo, 0, v2
	v_bfe_u32 v12, v10, 20, 11
	v_lshrrev_b32_e32 v8, 16, v8
	v_sub_nc_u32_e32 v13, 0x3f1, v7
	v_add_nc_u32_e32 v7, 0xfffffc10, v7
	v_cndmask_b32_e64 v2, 0, 1, vcc_lo
	v_cmp_ne_u32_e32 vcc_lo, 0, v9
	v_and_or_b32 v2, 0xffe, v5, v2
	v_cndmask_b32_e64 v9, 0, 1, vcc_lo
	v_sub_nc_u32_e32 v5, 0x3f1, v12
	v_add_nc_u32_e32 v12, 0xfffffc10, v12
	v_and_or_b32 v9, 0xffe, v11, v9
	v_med3_i32 v11, v13, 0, 13
	v_or_b32_e32 v13, 0x1000, v2
	v_med3_i32 v5, v5, 0, 13
	v_or_b32_e32 v14, 0x1000, v9
	v_lshrrev_b32_e32 v15, v11, v13
	v_lshrrev_b32_e32 v16, v5, v14
	v_lshlrev_b32_e32 v11, v11, v15
	v_lshlrev_b32_e32 v5, v5, v16
	v_cmp_ne_u32_e32 vcc_lo, v11, v13
	v_lshl_or_b32 v13, v7, 12, v2
	v_cndmask_b32_e64 v11, 0, 1, vcc_lo
	v_cmp_ne_u32_e32 vcc_lo, v5, v14
	v_lshl_or_b32 v14, v12, 12, v9
	v_or_b32_e32 v11, v15, v11
	v_cndmask_b32_e64 v5, 0, 1, vcc_lo
	v_cmp_gt_i32_e32 vcc_lo, 1, v7
	v_or_b32_e32 v5, v16, v5
	v_cndmask_b32_e32 v11, v13, v11, vcc_lo
	v_cmp_gt_i32_e32 vcc_lo, 1, v12
	v_and_b32_e32 v13, 7, v11
	v_cndmask_b32_e32 v5, v14, v5, vcc_lo
	v_cmp_ne_u32_e32 vcc_lo, 0, v2
	v_lshrrev_b32_e32 v11, 2, v11
	v_cmp_eq_u32_e64 s0, 3, v13
	v_and_b32_e32 v14, 7, v5
	v_cndmask_b32_e64 v2, 0, 1, vcc_lo
	v_cmp_ne_u32_e32 vcc_lo, 0, v9
	v_lshrrev_b32_e32 v5, 2, v5
	v_cmp_lt_i32_e64 s1, 5, v14
	v_cmp_eq_u32_e64 s2, 3, v14
	v_cndmask_b32_e64 v9, 0, 1, vcc_lo
	v_cmp_lt_i32_e32 vcc_lo, 5, v13
	v_lshl_or_b32 v2, v2, 9, 0x7c00
	v_lshl_or_b32 v9, v9, 9, 0x7c00
	s_or_b32 vcc_lo, s0, vcc_lo
	v_add_co_ci_u32_e32 v11, vcc_lo, 0, v11, vcc_lo
	s_or_b32 vcc_lo, s2, s1
	v_add_co_ci_u32_e32 v5, vcc_lo, 0, v5, vcc_lo
	v_cmp_gt_i32_e32 vcc_lo, 31, v7
	v_cndmask_b32_e32 v11, 0x7c00, v11, vcc_lo
	v_cmp_gt_i32_e32 vcc_lo, 31, v12
	v_cndmask_b32_e32 v5, 0x7c00, v5, vcc_lo
	v_cmp_eq_u32_e32 vcc_lo, 0x40f, v7
	v_lshrrev_b32_e32 v7, 16, v10
	v_cndmask_b32_e32 v2, v11, v2, vcc_lo
	v_cmp_eq_u32_e32 vcc_lo, 0x40f, v12
	v_and_or_b32 v2, 0x8000, v8, v2
	v_cndmask_b32_e32 v5, v5, v9, vcc_lo
	v_and_or_b32 v5, 0x8000, v7, v5
	v_and_b32_e32 v7, 0xffff, v2
	v_add_co_u32 v2, vcc_lo, v3, s6
	v_add_co_ci_u32_e32 v3, vcc_lo, s3, v4, vcc_lo
	v_lshl_or_b32 v4, v5, 16, v7
	global_store_dword v[2:3], v4, off
	global_load_dword v2, v24, s[12:13] offset:896
	v_lshrrev_b32_e32 v3, 16, v6
	s_waitcnt vmcnt(0)
	v_mul_f16_sdwa v4, v3, v2 dst_sel:DWORD dst_unused:UNUSED_PAD src0_sel:DWORD src1_sel:WORD_1
	v_mul_f16_sdwa v5, v6, v2 dst_sel:DWORD dst_unused:UNUSED_PAD src0_sel:DWORD src1_sel:WORD_1
	v_fmac_f16_e32 v4, v6, v2
	v_fma_f16 v2, v2, v3, -v5
	v_cvt_f32_f16_e32 v3, v4
	v_cvt_f32_f16_e32 v4, v2
	v_cvt_f64_f32_e32 v[2:3], v3
	v_cvt_f64_f32_e32 v[4:5], v4
	v_mul_f64 v[2:3], v[2:3], s[8:9]
	v_mul_f64 v[4:5], v[4:5], s[8:9]
	v_and_or_b32 v2, 0x1ff, v3, v2
	v_and_or_b32 v4, 0x1ff, v5, v4
	v_lshrrev_b32_e32 v6, 8, v3
	v_bfe_u32 v8, v3, 20, 11
	v_bfe_u32 v9, v5, 20, 11
	v_cmp_ne_u32_e32 vcc_lo, 0, v2
	v_lshrrev_b32_e32 v7, 8, v5
	v_lshrrev_b32_e32 v5, 16, v5
	v_sub_nc_u32_e32 v10, 0x3f1, v8
	v_sub_nc_u32_e32 v11, 0x3f1, v9
	v_cndmask_b32_e64 v2, 0, 1, vcc_lo
	v_cmp_ne_u32_e32 vcc_lo, 0, v4
	v_add_nc_u32_e32 v9, 0xfffffc10, v9
	v_and_or_b32 v12, 0xffe, v6, v2
	v_cndmask_b32_e64 v4, 0, 1, vcc_lo
	v_med3_i32 v2, v10, 0, 13
	v_med3_i32 v10, v11, 0, 13
	v_or_b32_e32 v11, 0x1000, v12
	v_and_or_b32 v4, 0xffe, v7, v4
	v_mad_u64_u32 v[6:7], null, s4, v23, 0
	v_lshrrev_b32_e32 v14, v2, v11
	v_or_b32_e32 v13, 0x1000, v4
	v_lshlrev_b32_e32 v16, v2, v14
	v_lshrrev_b32_e32 v15, v10, v13
	v_mov_b32_e32 v2, v7
	v_cmp_ne_u32_e32 vcc_lo, v16, v11
	v_lshlrev_b32_e32 v7, v10, v15
	v_add_nc_u32_e32 v10, 0xfffffc10, v8
	v_cndmask_b32_e64 v11, 0, 1, vcc_lo
	v_cmp_ne_u32_e32 vcc_lo, v7, v13
	v_mad_u64_u32 v[7:8], null, s5, v23, v[2:3]
	v_lshl_or_b32 v2, v10, 12, v12
	v_or_b32_e32 v8, v14, v11
	v_cndmask_b32_e64 v13, 0, 1, vcc_lo
	v_cmp_gt_i32_e32 vcc_lo, 1, v10
	v_lshl_or_b32 v11, v9, 12, v4
	v_lshrrev_b32_e32 v3, 16, v3
	v_or_b32_e32 v13, v15, v13
	v_cndmask_b32_e32 v2, v2, v8, vcc_lo
	v_cmp_gt_i32_e32 vcc_lo, 1, v9
	v_cndmask_b32_e32 v8, v11, v13, vcc_lo
	v_cmp_ne_u32_e32 vcc_lo, 0, v12
	v_and_b32_e32 v12, 7, v2
	v_lshrrev_b32_e32 v2, 2, v2
	v_and_b32_e32 v13, 7, v8
	v_cndmask_b32_e64 v11, 0, 1, vcc_lo
	v_cmp_ne_u32_e32 vcc_lo, 0, v4
	v_cmp_eq_u32_e64 s0, 3, v12
	v_lshrrev_b32_e32 v8, 2, v8
	v_cmp_lt_i32_e64 s1, 5, v13
	v_cmp_eq_u32_e64 s2, 3, v13
	v_cndmask_b32_e64 v4, 0, 1, vcc_lo
	v_cmp_lt_i32_e32 vcc_lo, 5, v12
	v_lshl_or_b32 v11, v11, 9, 0x7c00
	v_lshl_or_b32 v4, v4, 9, 0x7c00
	s_or_b32 vcc_lo, s0, vcc_lo
	v_add_co_ci_u32_e32 v2, vcc_lo, 0, v2, vcc_lo
	s_or_b32 vcc_lo, s2, s1
	v_add_co_ci_u32_e32 v8, vcc_lo, 0, v8, vcc_lo
	v_cmp_gt_i32_e32 vcc_lo, 31, v10
	v_cndmask_b32_e32 v2, 0x7c00, v2, vcc_lo
	v_cmp_gt_i32_e32 vcc_lo, 31, v9
	v_cndmask_b32_e32 v8, 0x7c00, v8, vcc_lo
	v_cmp_eq_u32_e32 vcc_lo, 0x40f, v10
	v_cndmask_b32_e32 v2, v2, v11, vcc_lo
	v_cmp_eq_u32_e32 vcc_lo, 0x40f, v9
	v_and_or_b32 v2, 0x8000, v3, v2
	v_cndmask_b32_e32 v4, v8, v4, vcc_lo
	v_and_or_b32 v4, 0x8000, v5, v4
	v_and_b32_e32 v5, 0xffff, v2
	v_lshlrev_b64 v[2:3], 2, v[6:7]
	v_lshl_or_b32 v4, v4, 16, v5
	v_add_co_u32 v0, vcc_lo, v0, v2
	v_add_co_ci_u32_e32 v1, vcc_lo, v1, v3, vcc_lo
	global_store_dword v[0:1], v4, off
.LBB0_15:
	s_endpgm
	.section	.rodata,"a",@progbits
	.p2align	6, 0x0
	.amdhsa_kernel bluestein_single_back_len238_dim1_half_op_CI_CI
		.amdhsa_group_segment_fixed_size 2856
		.amdhsa_private_segment_fixed_size 0
		.amdhsa_kernarg_size 104
		.amdhsa_user_sgpr_count 6
		.amdhsa_user_sgpr_private_segment_buffer 1
		.amdhsa_user_sgpr_dispatch_ptr 0
		.amdhsa_user_sgpr_queue_ptr 0
		.amdhsa_user_sgpr_kernarg_segment_ptr 1
		.amdhsa_user_sgpr_dispatch_id 0
		.amdhsa_user_sgpr_flat_scratch_init 0
		.amdhsa_user_sgpr_private_segment_size 0
		.amdhsa_wavefront_size32 1
		.amdhsa_uses_dynamic_stack 0
		.amdhsa_system_sgpr_private_segment_wavefront_offset 0
		.amdhsa_system_sgpr_workgroup_id_x 1
		.amdhsa_system_sgpr_workgroup_id_y 0
		.amdhsa_system_sgpr_workgroup_id_z 0
		.amdhsa_system_sgpr_workgroup_info 0
		.amdhsa_system_vgpr_workitem_id 0
		.amdhsa_next_free_vgpr 185
		.amdhsa_next_free_sgpr 16
		.amdhsa_reserve_vcc 1
		.amdhsa_reserve_flat_scratch 0
		.amdhsa_float_round_mode_32 0
		.amdhsa_float_round_mode_16_64 0
		.amdhsa_float_denorm_mode_32 3
		.amdhsa_float_denorm_mode_16_64 3
		.amdhsa_dx10_clamp 1
		.amdhsa_ieee_mode 1
		.amdhsa_fp16_overflow 0
		.amdhsa_workgroup_processor_mode 1
		.amdhsa_memory_ordered 1
		.amdhsa_forward_progress 0
		.amdhsa_shared_vgpr_count 0
		.amdhsa_exception_fp_ieee_invalid_op 0
		.amdhsa_exception_fp_denorm_src 0
		.amdhsa_exception_fp_ieee_div_zero 0
		.amdhsa_exception_fp_ieee_overflow 0
		.amdhsa_exception_fp_ieee_underflow 0
		.amdhsa_exception_fp_ieee_inexact 0
		.amdhsa_exception_int_div_zero 0
	.end_amdhsa_kernel
	.text
.Lfunc_end0:
	.size	bluestein_single_back_len238_dim1_half_op_CI_CI, .Lfunc_end0-bluestein_single_back_len238_dim1_half_op_CI_CI
                                        ; -- End function
	.section	.AMDGPU.csdata,"",@progbits
; Kernel info:
; codeLenInByte = 27656
; NumSgprs: 18
; NumVgprs: 185
; ScratchSize: 0
; MemoryBound: 0
; FloatMode: 240
; IeeeMode: 1
; LDSByteSize: 2856 bytes/workgroup (compile time only)
; SGPRBlocks: 2
; VGPRBlocks: 23
; NumSGPRsForWavesPerEU: 18
; NumVGPRsForWavesPerEU: 185
; Occupancy: 5
; WaveLimiterHint : 1
; COMPUTE_PGM_RSRC2:SCRATCH_EN: 0
; COMPUTE_PGM_RSRC2:USER_SGPR: 6
; COMPUTE_PGM_RSRC2:TRAP_HANDLER: 0
; COMPUTE_PGM_RSRC2:TGID_X_EN: 1
; COMPUTE_PGM_RSRC2:TGID_Y_EN: 0
; COMPUTE_PGM_RSRC2:TGID_Z_EN: 0
; COMPUTE_PGM_RSRC2:TIDIG_COMP_CNT: 0
	.text
	.p2alignl 6, 3214868480
	.fill 48, 4, 3214868480
	.type	__hip_cuid_b022940f3e92ae37,@object ; @__hip_cuid_b022940f3e92ae37
	.section	.bss,"aw",@nobits
	.globl	__hip_cuid_b022940f3e92ae37
__hip_cuid_b022940f3e92ae37:
	.byte	0                               ; 0x0
	.size	__hip_cuid_b022940f3e92ae37, 1

	.ident	"AMD clang version 19.0.0git (https://github.com/RadeonOpenCompute/llvm-project roc-6.4.0 25133 c7fe45cf4b819c5991fe208aaa96edf142730f1d)"
	.section	".note.GNU-stack","",@progbits
	.addrsig
	.addrsig_sym __hip_cuid_b022940f3e92ae37
	.amdgpu_metadata
---
amdhsa.kernels:
  - .args:
      - .actual_access:  read_only
        .address_space:  global
        .offset:         0
        .size:           8
        .value_kind:     global_buffer
      - .actual_access:  read_only
        .address_space:  global
        .offset:         8
        .size:           8
        .value_kind:     global_buffer
      - .actual_access:  read_only
        .address_space:  global
        .offset:         16
        .size:           8
        .value_kind:     global_buffer
      - .actual_access:  read_only
        .address_space:  global
        .offset:         24
        .size:           8
        .value_kind:     global_buffer
      - .actual_access:  read_only
        .address_space:  global
        .offset:         32
        .size:           8
        .value_kind:     global_buffer
      - .offset:         40
        .size:           8
        .value_kind:     by_value
      - .address_space:  global
        .offset:         48
        .size:           8
        .value_kind:     global_buffer
      - .address_space:  global
        .offset:         56
        .size:           8
        .value_kind:     global_buffer
      - .address_space:  global
        .offset:         64
        .size:           8
        .value_kind:     global_buffer
      - .address_space:  global
        .offset:         72
        .size:           8
        .value_kind:     global_buffer
      - .offset:         80
        .size:           4
        .value_kind:     by_value
      - .address_space:  global
        .offset:         88
        .size:           8
        .value_kind:     global_buffer
      - .address_space:  global
        .offset:         96
        .size:           8
        .value_kind:     global_buffer
    .group_segment_fixed_size: 2856
    .kernarg_segment_align: 8
    .kernarg_segment_size: 104
    .language:       OpenCL C
    .language_version:
      - 2
      - 0
    .max_flat_workgroup_size: 51
    .name:           bluestein_single_back_len238_dim1_half_op_CI_CI
    .private_segment_fixed_size: 0
    .sgpr_count:     18
    .sgpr_spill_count: 0
    .symbol:         bluestein_single_back_len238_dim1_half_op_CI_CI.kd
    .uniform_work_group_size: 1
    .uses_dynamic_stack: false
    .vgpr_count:     185
    .vgpr_spill_count: 0
    .wavefront_size: 32
    .workgroup_processor_mode: 1
amdhsa.target:   amdgcn-amd-amdhsa--gfx1030
amdhsa.version:
  - 1
  - 2
...

	.end_amdgpu_metadata
